;; amdgpu-corpus repo=LLNL/RAJAPerf kind=compiled arch=gfx906 opt=O3
	.amdgcn_target "amdgcn-amd-amdhsa--gfx906"
	.amdhsa_code_object_version 6
	.section	.text._ZN8rajaperf5basic13reduce_structILm256EEEvPdS2_S2_S2_S2_S2_S2_S2_dddl,"axG",@progbits,_ZN8rajaperf5basic13reduce_structILm256EEEvPdS2_S2_S2_S2_S2_S2_S2_dddl,comdat
	.protected	_ZN8rajaperf5basic13reduce_structILm256EEEvPdS2_S2_S2_S2_S2_S2_S2_dddl ; -- Begin function _ZN8rajaperf5basic13reduce_structILm256EEEvPdS2_S2_S2_S2_S2_S2_S2_dddl
	.globl	_ZN8rajaperf5basic13reduce_structILm256EEEvPdS2_S2_S2_S2_S2_S2_S2_dddl
	.p2align	8
	.type	_ZN8rajaperf5basic13reduce_structILm256EEEvPdS2_S2_S2_S2_S2_S2_S2_dddl,@function
_ZN8rajaperf5basic13reduce_structILm256EEEvPdS2_S2_S2_S2_S2_S2_S2_dddl: ; @_ZN8rajaperf5basic13reduce_structILm256EEEvPdS2_S2_S2_S2_S2_S2_S2_dddl
; %bb.0:
	s_load_dword s2, s[4:5], 0x6c
	s_load_dwordx16 s[8:23], s[4:5], 0x0
	s_load_dwordx8 s[24:31], s[4:5], 0x40
	s_add_u32 s0, s4, 0x60
	s_addc_u32 s1, s5, 0
	s_waitcnt lgkmcnt(0)
	s_and_b32 s38, s2, 0xffff
	s_lshl_b32 s2, s38, 3
	s_add_i32 s37, s2, 0
	s_add_i32 s36, s37, s2
	;; [unrolled: 1-line block ×3, first 2 shown]
	s_mul_i32 s6, s6, s38
	s_add_i32 s34, s35, s2
	v_add_u32_e32 v1, s6, v0
	v_mov_b32_e32 v2, 0
	v_lshlrev_b32_e32 v14, 3, v0
	v_mov_b32_e32 v3, s24
	v_mov_b32_e32 v10, s26
	;; [unrolled: 1-line block ×3, first 2 shown]
	s_add_i32 s33, s34, s2
	v_add_u32_e32 v5, 0, v14
	v_mov_b32_e32 v4, s25
	v_add_u32_e32 v6, s37, v14
	v_mov_b32_e32 v11, s27
	v_add_u32_e32 v7, s36, v14
	v_mov_b32_e32 v13, s29
	v_add_u32_e32 v8, s35, v14
	v_add_u32_e32 v9, s34, v14
	v_cmp_gt_i64_e32 vcc, s[30:31], v[1:2]
	s_mov_b32 s3, 0
	ds_write_b64 v5, v[3:4]
	ds_write_b64 v6, v[10:11]
	;; [unrolled: 1-line block ×5, first 2 shown]
	v_add_u32_e32 v10, s33, v14
	ds_write_b64 v10, v[12:13]
	s_and_saveexec_b64 s[4:5], vcc
	s_cbranch_execz .LBB0_3
; %bb.1:
	s_load_dword s0, s[0:1], 0x0
	v_lshlrev_b64 v[3:4], 3, v[1:2]
	s_mov_b64 s[6:7], 0
	v_mov_b32_e32 v11, s9
	v_mov_b32_e32 v12, s11
	s_waitcnt lgkmcnt(0)
	s_mul_i32 s2, s0, s38
	s_lshl_b64 s[24:25], s[2:3], 3
	v_mov_b32_e32 v13, s25
.LBB0_2:                                ; =>This Inner Loop Header: Depth=1
	v_add_co_u32_e32 v14, vcc, s8, v3
	v_addc_co_u32_e32 v15, vcc, v11, v4, vcc
	global_load_dwordx2 v[14:15], v[14:15], off
	ds_read_b64 v[16:17], v5
	s_waitcnt vmcnt(0) lgkmcnt(0)
	v_add_f64 v[16:17], v[14:15], v[16:17]
	ds_write_b64 v5, v[16:17]
	ds_read_b64 v[16:17], v6
	s_waitcnt lgkmcnt(0)
	v_cmp_lt_f64_e32 vcc, v[14:15], v[16:17]
	v_cndmask_b32_e32 v17, v17, v15, vcc
	v_cndmask_b32_e32 v16, v16, v14, vcc
	ds_write_b64 v6, v[16:17]
	ds_read_b64 v[16:17], v7
	s_waitcnt lgkmcnt(0)
	v_cmp_gt_f64_e32 vcc, v[14:15], v[16:17]
	v_cndmask_b32_e32 v15, v17, v15, vcc
	v_cndmask_b32_e32 v14, v16, v14, vcc
	v_add_co_u32_e32 v16, vcc, s10, v3
	v_addc_co_u32_e32 v17, vcc, v12, v4, vcc
	global_load_dwordx2 v[16:17], v[16:17], off
	ds_write_b64 v7, v[14:15]
	ds_read_b64 v[14:15], v8
	v_add_co_u32_e64 v3, s[0:1], s24, v3
	v_addc_co_u32_e64 v4, s[0:1], v4, v13, s[0:1]
	s_waitcnt vmcnt(0) lgkmcnt(0)
	v_add_f64 v[14:15], v[16:17], v[14:15]
	ds_write_b64 v8, v[14:15]
	ds_read_b64 v[14:15], v9
	s_waitcnt lgkmcnt(0)
	v_cmp_lt_f64_e32 vcc, v[16:17], v[14:15]
	v_cndmask_b32_e32 v15, v15, v17, vcc
	v_cndmask_b32_e32 v14, v14, v16, vcc
	ds_write_b64 v9, v[14:15]
	ds_read_b64 v[14:15], v10
	v_add_co_u32_e32 v1, vcc, s2, v1
	v_addc_co_u32_e32 v2, vcc, 0, v2, vcc
	s_waitcnt lgkmcnt(0)
	v_cmp_gt_f64_e32 vcc, v[16:17], v[14:15]
	v_cmp_le_i64_e64 s[0:1], s[30:31], v[1:2]
	s_or_b64 s[6:7], s[0:1], s[6:7]
	v_cndmask_b32_e32 v15, v15, v17, vcc
	v_cndmask_b32_e32 v14, v14, v16, vcc
	ds_write_b64 v10, v[14:15]
	s_andn2_b64 exec, exec, s[6:7]
	s_cbranch_execnz .LBB0_2
.LBB0_3:
	s_or_b64 exec, exec, s[4:5]
	v_mov_b32_e32 v1, 0
	s_cmp_lt_u32 s38, 2
	s_waitcnt lgkmcnt(0)
	s_barrier
	s_cbranch_scc1 .LBB0_8
; %bb.4:
	s_lshr_b32 s0, s38, 1
	s_mov_b32 s1, 0
	s_branch .LBB0_6
.LBB0_5:                                ;   in Loop: Header=BB0_6 Depth=1
	s_or_b64 exec, exec, s[2:3]
	v_cmp_gt_u64_e64 s[2:3], s[0:1], 1
	s_lshr_b64 s[0:1], s[0:1], 1
	s_and_b64 vcc, exec, s[2:3]
	s_waitcnt lgkmcnt(0)
	s_barrier
	s_cbranch_vccz .LBB0_8
.LBB0_6:                                ; =>This Inner Loop Header: Depth=1
	v_cmp_gt_u64_e32 vcc, s[0:1], v[0:1]
	s_and_saveexec_b64 s[2:3], vcc
	s_cbranch_execz .LBB0_5
; %bb.7:                                ;   in Loop: Header=BB0_6 Depth=1
	s_lshl_b32 s4, s0, 3
	v_add_u32_e32 v2, s4, v5
	ds_read_b64 v[2:3], v2
	ds_read_b64 v[11:12], v5
	v_add_u32_e32 v4, s4, v6
	s_waitcnt lgkmcnt(0)
	v_add_f64 v[2:3], v[2:3], v[11:12]
	ds_write_b64 v5, v[2:3]
	ds_read_b64 v[2:3], v4
	ds_read_b64 v[11:12], v6
	v_add_u32_e32 v4, s4, v7
	s_waitcnt lgkmcnt(0)
	v_cmp_lt_f64_e32 vcc, v[2:3], v[11:12]
	v_cndmask_b32_e32 v3, v12, v3, vcc
	v_cndmask_b32_e32 v2, v11, v2, vcc
	ds_write_b64 v6, v[2:3]
	ds_read_b64 v[2:3], v4
	ds_read_b64 v[11:12], v7
	v_add_u32_e32 v4, s4, v8
	s_waitcnt lgkmcnt(0)
	v_cmp_gt_f64_e32 vcc, v[2:3], v[11:12]
	v_cndmask_b32_e32 v3, v12, v3, vcc
	v_cndmask_b32_e32 v2, v11, v2, vcc
	ds_write_b64 v7, v[2:3]
	ds_read_b64 v[2:3], v4
	ds_read_b64 v[11:12], v8
	v_add_u32_e32 v4, s4, v9
	s_waitcnt lgkmcnt(0)
	v_add_f64 v[2:3], v[2:3], v[11:12]
	ds_write_b64 v8, v[2:3]
	ds_read_b64 v[2:3], v4
	ds_read_b64 v[11:12], v9
	v_add_u32_e32 v4, s4, v10
	s_waitcnt lgkmcnt(0)
	v_cmp_lt_f64_e32 vcc, v[2:3], v[11:12]
	v_cndmask_b32_e32 v3, v12, v3, vcc
	v_cndmask_b32_e32 v2, v11, v2, vcc
	ds_write_b64 v9, v[2:3]
	ds_read_b64 v[2:3], v4
	ds_read_b64 v[11:12], v10
	s_waitcnt lgkmcnt(0)
	v_cmp_gt_f64_e32 vcc, v[2:3], v[11:12]
	v_cndmask_b32_e32 v3, v12, v3, vcc
	v_cndmask_b32_e32 v2, v11, v2, vcc
	ds_write_b64 v10, v[2:3]
	s_branch .LBB0_5
.LBB0_8:
	v_cmp_eq_u32_e32 vcc, 0, v0
	s_and_saveexec_b64 s[0:1], vcc
	s_cbranch_execz .LBB0_27
; %bb.9:
	s_mov_b64 s[2:3], exec
	v_mbcnt_lo_u32_b32 v0, s2, 0
	v_mbcnt_hi_u32_b32 v0, s3, v0
	v_cmp_eq_u32_e32 vcc, 0, v0
	s_and_saveexec_b64 s[0:1], vcc
	s_cbranch_execz .LBB0_12
; %bb.10:
	v_mov_b32_e32 v6, 0
	ds_read_b64 v[0:1], v6
	s_bcnt1_i32_b64 s2, s[2:3]
	v_cvt_f64_u32_e32 v[2:3], s2
	s_load_dwordx2 s[4:5], s[12:13], 0x0
	s_mov_b64 s[2:3], 0
	s_waitcnt lgkmcnt(0)
	v_mul_f64 v[4:5], v[0:1], v[2:3]
	v_mov_b32_e32 v2, s4
	v_mov_b32_e32 v3, s5
.LBB0_11:                               ; =>This Inner Loop Header: Depth=1
	v_add_f64 v[0:1], v[2:3], v[4:5]
	global_atomic_cmpswap_x2 v[0:1], v6, v[0:3], s[12:13] glc
	s_waitcnt vmcnt(0)
	v_cmp_eq_u64_e32 vcc, v[0:1], v[2:3]
	v_mov_b32_e32 v3, v1
	s_or_b64 s[2:3], vcc, s[2:3]
	v_mov_b32_e32 v2, v0
	s_andn2_b64 exec, exec, s[2:3]
	s_cbranch_execnz .LBB0_11
.LBB0_12:
	s_or_b64 exec, exec, s[0:1]
	v_mbcnt_lo_u32_b32 v0, exec_lo, 0
	v_mbcnt_hi_u32_b32 v0, exec_hi, v0
	v_cmp_eq_u32_e32 vcc, 0, v0
	s_and_saveexec_b64 s[0:1], vcc
	s_cbranch_execz .LBB0_15
; %bb.13:
	v_mov_b32_e32 v6, 0
	global_load_dwordx2 v[2:3], v6, s[14:15]
	v_mov_b32_e32 v0, s37
	ds_read_b64 v[0:1], v0
	s_mov_b64 s[2:3], 0
	s_waitcnt lgkmcnt(0)
	v_max_f64 v[4:5], v[0:1], v[0:1]
.LBB0_14:                               ; =>This Inner Loop Header: Depth=1
	s_waitcnt vmcnt(0)
	v_max_f64 v[0:1], v[2:3], v[2:3]
	v_min_f64 v[0:1], v[0:1], v[4:5]
	global_atomic_cmpswap_x2 v[0:1], v6, v[0:3], s[14:15] glc
	s_waitcnt vmcnt(0)
	v_cmp_eq_u64_e32 vcc, v[0:1], v[2:3]
	v_mov_b32_e32 v3, v1
	s_or_b64 s[2:3], vcc, s[2:3]
	v_mov_b32_e32 v2, v0
	s_andn2_b64 exec, exec, s[2:3]
	s_cbranch_execnz .LBB0_14
.LBB0_15:
	s_or_b64 exec, exec, s[0:1]
	v_mbcnt_lo_u32_b32 v0, exec_lo, 0
	v_mbcnt_hi_u32_b32 v0, exec_hi, v0
	v_cmp_eq_u32_e32 vcc, 0, v0
	s_and_saveexec_b64 s[0:1], vcc
	s_cbranch_execz .LBB0_18
; %bb.16:
	v_mov_b32_e32 v6, 0
	global_load_dwordx2 v[2:3], v6, s[16:17]
	v_mov_b32_e32 v0, s36
	ds_read_b64 v[0:1], v0
	s_mov_b64 s[2:3], 0
	s_waitcnt lgkmcnt(0)
	v_max_f64 v[4:5], v[0:1], v[0:1]
.LBB0_17:                               ; =>This Inner Loop Header: Depth=1
	s_waitcnt vmcnt(0)
	v_max_f64 v[0:1], v[2:3], v[2:3]
	v_max_f64 v[0:1], v[0:1], v[4:5]
	global_atomic_cmpswap_x2 v[0:1], v6, v[0:3], s[16:17] glc
	s_waitcnt vmcnt(0)
	v_cmp_eq_u64_e32 vcc, v[0:1], v[2:3]
	v_mov_b32_e32 v3, v1
	s_or_b64 s[2:3], vcc, s[2:3]
	v_mov_b32_e32 v2, v0
	s_andn2_b64 exec, exec, s[2:3]
	s_cbranch_execnz .LBB0_17
.LBB0_18:
	s_or_b64 exec, exec, s[0:1]
	s_mov_b64 s[2:3], exec
	v_mbcnt_lo_u32_b32 v0, s2, 0
	v_mbcnt_hi_u32_b32 v0, s3, v0
	v_cmp_eq_u32_e32 vcc, 0, v0
	s_and_saveexec_b64 s[0:1], vcc
	s_cbranch_execz .LBB0_21
; %bb.19:
	v_mov_b32_e32 v6, 0
	global_load_dwordx2 v[2:3], v6, s[18:19]
	v_mov_b32_e32 v0, s35
	ds_read_b64 v[0:1], v0
	s_bcnt1_i32_b64 s2, s[2:3]
	v_cvt_f64_u32_e32 v[4:5], s2
	s_mov_b64 s[2:3], 0
	s_waitcnt lgkmcnt(0)
	v_mul_f64 v[4:5], v[0:1], v[4:5]
.LBB0_20:                               ; =>This Inner Loop Header: Depth=1
	s_waitcnt vmcnt(0)
	v_add_f64 v[0:1], v[2:3], v[4:5]
	global_atomic_cmpswap_x2 v[0:1], v6, v[0:3], s[18:19] glc
	s_waitcnt vmcnt(0)
	v_cmp_eq_u64_e32 vcc, v[0:1], v[2:3]
	v_mov_b32_e32 v3, v1
	s_or_b64 s[2:3], vcc, s[2:3]
	v_mov_b32_e32 v2, v0
	s_andn2_b64 exec, exec, s[2:3]
	s_cbranch_execnz .LBB0_20
.LBB0_21:
	s_or_b64 exec, exec, s[0:1]
	v_mbcnt_lo_u32_b32 v0, exec_lo, 0
	v_mbcnt_hi_u32_b32 v0, exec_hi, v0
	v_cmp_eq_u32_e32 vcc, 0, v0
	s_and_saveexec_b64 s[0:1], vcc
	s_cbranch_execz .LBB0_24
; %bb.22:
	v_mov_b32_e32 v6, 0
	global_load_dwordx2 v[2:3], v6, s[20:21]
	v_mov_b32_e32 v0, s34
	ds_read_b64 v[0:1], v0
	s_mov_b64 s[2:3], 0
	s_waitcnt lgkmcnt(0)
	v_max_f64 v[4:5], v[0:1], v[0:1]
.LBB0_23:                               ; =>This Inner Loop Header: Depth=1
	s_waitcnt vmcnt(0)
	v_max_f64 v[0:1], v[2:3], v[2:3]
	v_min_f64 v[0:1], v[0:1], v[4:5]
	global_atomic_cmpswap_x2 v[0:1], v6, v[0:3], s[20:21] glc
	s_waitcnt vmcnt(0)
	v_cmp_eq_u64_e32 vcc, v[0:1], v[2:3]
	v_mov_b32_e32 v3, v1
	s_or_b64 s[2:3], vcc, s[2:3]
	v_mov_b32_e32 v2, v0
	s_andn2_b64 exec, exec, s[2:3]
	s_cbranch_execnz .LBB0_23
.LBB0_24:
	s_or_b64 exec, exec, s[0:1]
	v_mbcnt_lo_u32_b32 v0, exec_lo, 0
	v_mbcnt_hi_u32_b32 v0, exec_hi, v0
	v_cmp_eq_u32_e32 vcc, 0, v0
	s_and_b64 exec, exec, vcc
	s_cbranch_execz .LBB0_27
; %bb.25:
	v_mov_b32_e32 v6, 0
	global_load_dwordx2 v[2:3], v6, s[22:23]
	v_mov_b32_e32 v0, s33
	ds_read_b64 v[0:1], v0
	s_mov_b64 s[0:1], 0
	s_waitcnt lgkmcnt(0)
	v_max_f64 v[4:5], v[0:1], v[0:1]
.LBB0_26:                               ; =>This Inner Loop Header: Depth=1
	s_waitcnt vmcnt(0)
	v_max_f64 v[0:1], v[2:3], v[2:3]
	v_max_f64 v[0:1], v[0:1], v[4:5]
	global_atomic_cmpswap_x2 v[0:1], v6, v[0:3], s[22:23] glc
	s_waitcnt vmcnt(0)
	v_cmp_eq_u64_e32 vcc, v[0:1], v[2:3]
	v_mov_b32_e32 v3, v1
	s_or_b64 s[0:1], vcc, s[0:1]
	v_mov_b32_e32 v2, v0
	s_andn2_b64 exec, exec, s[0:1]
	s_cbranch_execnz .LBB0_26
.LBB0_27:
	s_endpgm
	.section	.rodata,"a",@progbits
	.p2align	6, 0x0
	.amdhsa_kernel _ZN8rajaperf5basic13reduce_structILm256EEEvPdS2_S2_S2_S2_S2_S2_S2_dddl
		.amdhsa_group_segment_fixed_size 0
		.amdhsa_private_segment_fixed_size 0
		.amdhsa_kernarg_size 352
		.amdhsa_user_sgpr_count 6
		.amdhsa_user_sgpr_private_segment_buffer 1
		.amdhsa_user_sgpr_dispatch_ptr 0
		.amdhsa_user_sgpr_queue_ptr 0
		.amdhsa_user_sgpr_kernarg_segment_ptr 1
		.amdhsa_user_sgpr_dispatch_id 0
		.amdhsa_user_sgpr_flat_scratch_init 0
		.amdhsa_user_sgpr_private_segment_size 0
		.amdhsa_uses_dynamic_stack 0
		.amdhsa_system_sgpr_private_segment_wavefront_offset 0
		.amdhsa_system_sgpr_workgroup_id_x 1
		.amdhsa_system_sgpr_workgroup_id_y 0
		.amdhsa_system_sgpr_workgroup_id_z 0
		.amdhsa_system_sgpr_workgroup_info 0
		.amdhsa_system_vgpr_workitem_id 0
		.amdhsa_next_free_vgpr 18
		.amdhsa_next_free_sgpr 39
		.amdhsa_reserve_vcc 1
		.amdhsa_reserve_flat_scratch 0
		.amdhsa_float_round_mode_32 0
		.amdhsa_float_round_mode_16_64 0
		.amdhsa_float_denorm_mode_32 3
		.amdhsa_float_denorm_mode_16_64 3
		.amdhsa_dx10_clamp 1
		.amdhsa_ieee_mode 1
		.amdhsa_fp16_overflow 0
		.amdhsa_exception_fp_ieee_invalid_op 0
		.amdhsa_exception_fp_denorm_src 0
		.amdhsa_exception_fp_ieee_div_zero 0
		.amdhsa_exception_fp_ieee_overflow 0
		.amdhsa_exception_fp_ieee_underflow 0
		.amdhsa_exception_fp_ieee_inexact 0
		.amdhsa_exception_int_div_zero 0
	.end_amdhsa_kernel
	.section	.text._ZN8rajaperf5basic13reduce_structILm256EEEvPdS2_S2_S2_S2_S2_S2_S2_dddl,"axG",@progbits,_ZN8rajaperf5basic13reduce_structILm256EEEvPdS2_S2_S2_S2_S2_S2_S2_dddl,comdat
.Lfunc_end0:
	.size	_ZN8rajaperf5basic13reduce_structILm256EEEvPdS2_S2_S2_S2_S2_S2_S2_dddl, .Lfunc_end0-_ZN8rajaperf5basic13reduce_structILm256EEEvPdS2_S2_S2_S2_S2_S2_S2_dddl
                                        ; -- End function
	.set _ZN8rajaperf5basic13reduce_structILm256EEEvPdS2_S2_S2_S2_S2_S2_S2_dddl.num_vgpr, 18
	.set _ZN8rajaperf5basic13reduce_structILm256EEEvPdS2_S2_S2_S2_S2_S2_S2_dddl.num_agpr, 0
	.set _ZN8rajaperf5basic13reduce_structILm256EEEvPdS2_S2_S2_S2_S2_S2_S2_dddl.numbered_sgpr, 39
	.set _ZN8rajaperf5basic13reduce_structILm256EEEvPdS2_S2_S2_S2_S2_S2_S2_dddl.num_named_barrier, 0
	.set _ZN8rajaperf5basic13reduce_structILm256EEEvPdS2_S2_S2_S2_S2_S2_S2_dddl.private_seg_size, 0
	.set _ZN8rajaperf5basic13reduce_structILm256EEEvPdS2_S2_S2_S2_S2_S2_S2_dddl.uses_vcc, 1
	.set _ZN8rajaperf5basic13reduce_structILm256EEEvPdS2_S2_S2_S2_S2_S2_S2_dddl.uses_flat_scratch, 0
	.set _ZN8rajaperf5basic13reduce_structILm256EEEvPdS2_S2_S2_S2_S2_S2_S2_dddl.has_dyn_sized_stack, 0
	.set _ZN8rajaperf5basic13reduce_structILm256EEEvPdS2_S2_S2_S2_S2_S2_S2_dddl.has_recursion, 0
	.set _ZN8rajaperf5basic13reduce_structILm256EEEvPdS2_S2_S2_S2_S2_S2_S2_dddl.has_indirect_call, 0
	.section	.AMDGPU.csdata,"",@progbits
; Kernel info:
; codeLenInByte = 1636
; TotalNumSgprs: 43
; NumVgprs: 18
; ScratchSize: 0
; MemoryBound: 0
; FloatMode: 240
; IeeeMode: 1
; LDSByteSize: 0 bytes/workgroup (compile time only)
; SGPRBlocks: 5
; VGPRBlocks: 4
; NumSGPRsForWavesPerEU: 43
; NumVGPRsForWavesPerEU: 18
; Occupancy: 10
; WaveLimiterHint : 0
; COMPUTE_PGM_RSRC2:SCRATCH_EN: 0
; COMPUTE_PGM_RSRC2:USER_SGPR: 6
; COMPUTE_PGM_RSRC2:TRAP_HANDLER: 0
; COMPUTE_PGM_RSRC2:TGID_X_EN: 1
; COMPUTE_PGM_RSRC2:TGID_Y_EN: 0
; COMPUTE_PGM_RSRC2:TGID_Z_EN: 0
; COMPUTE_PGM_RSRC2:TIDIG_COMP_CNT: 0
	.section	.text._ZN4RAJA6policy3hip4impl18forallp_hip_kernelINS1_8hip_execINS_17iteration_mapping6DirectENS_3hip11IndexGlobalILNS_9named_dimE0ELi256ELi0EEENS7_40AvoidDeviceMaxThreadOccupancyConcretizerINS7_34FractionOffsetOccupancyConcretizerINS_8FractionImLm1ELm1EEELln1EEEEELb1EEENS_9Iterators16numeric_iteratorIllPlEEZN8rajaperf5basic13REDUCE_STRUCT17runHipVariantRAJAILm256ENSM_13gpu_algorithm19block_atomic_helperENSM_11gpu_mapping20global_direct_helperEEEvNSM_9VariantIDEEUllE_lNS_4expt15ForallParamPackIJEEES6_SA_TnNSt9enable_ifIXaasr3std10is_base_ofINS5_10DirectBaseET4_EE5valuegtsrT5_10block_sizeLi0EEmE4typeELm256EEEvT1_T0_T2_T3_,"axG",@progbits,_ZN4RAJA6policy3hip4impl18forallp_hip_kernelINS1_8hip_execINS_17iteration_mapping6DirectENS_3hip11IndexGlobalILNS_9named_dimE0ELi256ELi0EEENS7_40AvoidDeviceMaxThreadOccupancyConcretizerINS7_34FractionOffsetOccupancyConcretizerINS_8FractionImLm1ELm1EEELln1EEEEELb1EEENS_9Iterators16numeric_iteratorIllPlEEZN8rajaperf5basic13REDUCE_STRUCT17runHipVariantRAJAILm256ENSM_13gpu_algorithm19block_atomic_helperENSM_11gpu_mapping20global_direct_helperEEEvNSM_9VariantIDEEUllE_lNS_4expt15ForallParamPackIJEEES6_SA_TnNSt9enable_ifIXaasr3std10is_base_ofINS5_10DirectBaseET4_EE5valuegtsrT5_10block_sizeLi0EEmE4typeELm256EEEvT1_T0_T2_T3_,comdat
	.protected	_ZN4RAJA6policy3hip4impl18forallp_hip_kernelINS1_8hip_execINS_17iteration_mapping6DirectENS_3hip11IndexGlobalILNS_9named_dimE0ELi256ELi0EEENS7_40AvoidDeviceMaxThreadOccupancyConcretizerINS7_34FractionOffsetOccupancyConcretizerINS_8FractionImLm1ELm1EEELln1EEEEELb1EEENS_9Iterators16numeric_iteratorIllPlEEZN8rajaperf5basic13REDUCE_STRUCT17runHipVariantRAJAILm256ENSM_13gpu_algorithm19block_atomic_helperENSM_11gpu_mapping20global_direct_helperEEEvNSM_9VariantIDEEUllE_lNS_4expt15ForallParamPackIJEEES6_SA_TnNSt9enable_ifIXaasr3std10is_base_ofINS5_10DirectBaseET4_EE5valuegtsrT5_10block_sizeLi0EEmE4typeELm256EEEvT1_T0_T2_T3_ ; -- Begin function _ZN4RAJA6policy3hip4impl18forallp_hip_kernelINS1_8hip_execINS_17iteration_mapping6DirectENS_3hip11IndexGlobalILNS_9named_dimE0ELi256ELi0EEENS7_40AvoidDeviceMaxThreadOccupancyConcretizerINS7_34FractionOffsetOccupancyConcretizerINS_8FractionImLm1ELm1EEELln1EEEEELb1EEENS_9Iterators16numeric_iteratorIllPlEEZN8rajaperf5basic13REDUCE_STRUCT17runHipVariantRAJAILm256ENSM_13gpu_algorithm19block_atomic_helperENSM_11gpu_mapping20global_direct_helperEEEvNSM_9VariantIDEEUllE_lNS_4expt15ForallParamPackIJEEES6_SA_TnNSt9enable_ifIXaasr3std10is_base_ofINS5_10DirectBaseET4_EE5valuegtsrT5_10block_sizeLi0EEmE4typeELm256EEEvT1_T0_T2_T3_
	.globl	_ZN4RAJA6policy3hip4impl18forallp_hip_kernelINS1_8hip_execINS_17iteration_mapping6DirectENS_3hip11IndexGlobalILNS_9named_dimE0ELi256ELi0EEENS7_40AvoidDeviceMaxThreadOccupancyConcretizerINS7_34FractionOffsetOccupancyConcretizerINS_8FractionImLm1ELm1EEELln1EEEEELb1EEENS_9Iterators16numeric_iteratorIllPlEEZN8rajaperf5basic13REDUCE_STRUCT17runHipVariantRAJAILm256ENSM_13gpu_algorithm19block_atomic_helperENSM_11gpu_mapping20global_direct_helperEEEvNSM_9VariantIDEEUllE_lNS_4expt15ForallParamPackIJEEES6_SA_TnNSt9enable_ifIXaasr3std10is_base_ofINS5_10DirectBaseET4_EE5valuegtsrT5_10block_sizeLi0EEmE4typeELm256EEEvT1_T0_T2_T3_
	.p2align	8
	.type	_ZN4RAJA6policy3hip4impl18forallp_hip_kernelINS1_8hip_execINS_17iteration_mapping6DirectENS_3hip11IndexGlobalILNS_9named_dimE0ELi256ELi0EEENS7_40AvoidDeviceMaxThreadOccupancyConcretizerINS7_34FractionOffsetOccupancyConcretizerINS_8FractionImLm1ELm1EEELln1EEEEELb1EEENS_9Iterators16numeric_iteratorIllPlEEZN8rajaperf5basic13REDUCE_STRUCT17runHipVariantRAJAILm256ENSM_13gpu_algorithm19block_atomic_helperENSM_11gpu_mapping20global_direct_helperEEEvNSM_9VariantIDEEUllE_lNS_4expt15ForallParamPackIJEEES6_SA_TnNSt9enable_ifIXaasr3std10is_base_ofINS5_10DirectBaseET4_EE5valuegtsrT5_10block_sizeLi0EEmE4typeELm256EEEvT1_T0_T2_T3_,@function
_ZN4RAJA6policy3hip4impl18forallp_hip_kernelINS1_8hip_execINS_17iteration_mapping6DirectENS_3hip11IndexGlobalILNS_9named_dimE0ELi256ELi0EEENS7_40AvoidDeviceMaxThreadOccupancyConcretizerINS7_34FractionOffsetOccupancyConcretizerINS_8FractionImLm1ELm1EEELln1EEEEELb1EEENS_9Iterators16numeric_iteratorIllPlEEZN8rajaperf5basic13REDUCE_STRUCT17runHipVariantRAJAILm256ENSM_13gpu_algorithm19block_atomic_helperENSM_11gpu_mapping20global_direct_helperEEEvNSM_9VariantIDEEUllE_lNS_4expt15ForallParamPackIJEEES6_SA_TnNSt9enable_ifIXaasr3std10is_base_ofINS5_10DirectBaseET4_EE5valuegtsrT5_10block_sizeLi0EEmE4typeELm256EEEvT1_T0_T2_T3_: ; @_ZN4RAJA6policy3hip4impl18forallp_hip_kernelINS1_8hip_execINS_17iteration_mapping6DirectENS_3hip11IndexGlobalILNS_9named_dimE0ELi256ELi0EEENS7_40AvoidDeviceMaxThreadOccupancyConcretizerINS7_34FractionOffsetOccupancyConcretizerINS_8FractionImLm1ELm1EEELln1EEEEELb1EEENS_9Iterators16numeric_iteratorIllPlEEZN8rajaperf5basic13REDUCE_STRUCT17runHipVariantRAJAILm256ENSM_13gpu_algorithm19block_atomic_helperENSM_11gpu_mapping20global_direct_helperEEEvNSM_9VariantIDEEUllE_lNS_4expt15ForallParamPackIJEEES6_SA_TnNSt9enable_ifIXaasr3std10is_base_ofINS5_10DirectBaseET4_EE5valuegtsrT5_10block_sizeLi0EEmE4typeELm256EEEvT1_T0_T2_T3_
; %bb.0:
	s_load_dwordx2 s[24:25], s[4:5], 0x18
	s_load_dwordx2 s[26:27], s[4:5], 0x48
	;; [unrolled: 1-line block ×5, first 2 shown]
	s_load_dwordx4 s[16:19], s[4:5], 0xd8
	s_load_dwordx4 s[12:15], s[4:5], 0x100
	s_load_dwordx2 s[22:23], s[4:5], 0xf0
	s_mov_b32 s0, s7
	s_mov_b32 s7, 0
	s_lshl_b64 s[2:3], s[6:7], 8
	v_or_b32_e32 v5, s2, v0
	v_mov_b32_e32 v6, s3
	s_waitcnt lgkmcnt(0)
	v_cmp_gt_i64_e32 vcc, s[14:15], v[5:6]
	v_mov_b32_e32 v7, s24
	v_mov_b32_e32 v9, s26
	;; [unrolled: 1-line block ×12, first 2 shown]
	s_and_saveexec_b64 s[14:15], vcc
	s_cbranch_execnz .LBB1_7
; %bb.1:
	s_or_b64 exec, exec, s[14:15]
	s_load_dwordx4 s[12:15], s[4:5], 0xb0
	s_cmp_lg_u64 s[16:17], 0
	s_cbranch_scc0 .LBB1_8
.LBB1_2:
	s_load_dwordx4 s[16:19], s[4:5], 0x80
	s_waitcnt lgkmcnt(0)
	s_cmp_lg_u64 s[12:13], 0
	s_cbranch_scc0 .LBB1_24
.LBB1_3:
	s_load_dwordx4 s[20:23], s[4:5], 0x58
	s_waitcnt lgkmcnt(0)
	s_cmp_lg_u64 s[16:17], 0
	s_cbranch_scc0 .LBB1_40
.LBB1_4:
	s_load_dwordx4 s[12:15], s[4:5], 0x30
	s_waitcnt lgkmcnt(0)
	s_cmp_lg_u64 s[20:21], 0
	s_cbranch_scc0 .LBB1_55
.LBB1_5:
	s_load_dwordx4 s[16:19], s[4:5], 0x0
	s_waitcnt lgkmcnt(0)
	s_cmp_lg_u64 s[12:13], 0
	s_cbranch_scc0 .LBB1_71
.LBB1_6:
	s_waitcnt lgkmcnt(0)
	s_cmp_lg_u64 s[16:17], 0
	s_cbranch_scc1 .LBB1_101
	s_branch .LBB1_87
.LBB1_7:
	s_load_dwordx2 s[2:3], s[4:5], 0xa8
	s_load_dwordx2 s[10:11], s[4:5], 0x28
	v_mov_b32_e32 v4, s13
	v_add_co_u32_e32 v3, vcc, s12, v5
	v_addc_co_u32_e32 v4, vcc, v6, v4, vcc
	v_lshlrev_b64 v[3:4], 3, v[3:4]
	s_waitcnt lgkmcnt(0)
	v_mov_b32_e32 v6, s11
	v_add_co_u32_e32 v5, vcc, s10, v3
	v_addc_co_u32_e32 v6, vcc, v6, v4, vcc
	v_mov_b32_e32 v7, s3
	v_add_co_u32_e32 v3, vcc, s2, v3
	v_addc_co_u32_e32 v4, vcc, v7, v4, vcc
	global_load_dwordx2 v[5:6], v[5:6], off
	v_mov_b32_e32 v9, s27
	global_load_dwordx2 v[3:4], v[3:4], off
	v_mov_b32_e32 v11, s26
	v_mov_b32_e32 v12, s29
	;; [unrolled: 1-line block ×7, first 2 shown]
	s_waitcnt vmcnt(1)
	v_cmp_gt_f64_e32 vcc, s[26:27], v[5:6]
	v_cmp_lt_f64_e64 s[2:3], s[28:29], v[5:6]
	s_waitcnt vmcnt(0)
	v_cmp_gt_f64_e64 s[10:11], s[20:21], v[3:4]
	v_cmp_lt_f64_e64 s[12:13], s[22:23], v[3:4]
	v_add_f64 v[7:8], s[24:25], v[5:6]
	v_add_f64 v[13:14], s[30:31], v[3:4]
	v_cndmask_b32_e32 v10, v9, v6, vcc
	v_cndmask_b32_e64 v12, v12, v6, s[2:3]
	v_cndmask_b32_e64 v16, v16, v4, s[10:11]
	;; [unrolled: 1-line block ×3, first 2 shown]
	v_cndmask_b32_e32 v9, v11, v5, vcc
	v_cndmask_b32_e64 v11, v15, v5, s[2:3]
	v_cndmask_b32_e64 v15, v17, v3, s[10:11]
	v_cndmask_b32_e64 v3, v19, v3, s[12:13]
	s_or_b64 exec, exec, s[14:15]
	s_load_dwordx4 s[12:15], s[4:5], 0xb0
	s_cmp_lg_u64 s[16:17], 0
	s_cbranch_scc1 .LBB1_2
.LBB1_8:
	s_load_dwordx2 s[10:11], s[4:5], 0x118
	s_add_u32 s1, s4, 0x118
	v_mov_b32_e32 v5, 0
	s_addc_u32 s3, s5, 0
	global_load_dword v6, v5, s[4:5] offset:294
	s_waitcnt lgkmcnt(0)
	s_cmp_lt_u32 s6, s10
	s_cselect_b32 s2, 12, 18
	s_add_u32 s2, s1, s2
	s_addc_u32 s3, s3, 0
	global_load_ushort v5, v5, s[2:3]
	v_mbcnt_lo_u32_b32 v17, -1, 0
	v_mbcnt_hi_u32_b32 v20, -1, v17
	s_waitcnt vmcnt(1)
	v_readfirstlane_b32 s1, v6
	s_lshr_b32 s2, s1, 16
	s_and_b32 s1, s1, 0xffff
	s_waitcnt vmcnt(0)
	v_readfirstlane_b32 s3, v5
	s_mul_i32 s1, s1, s3
	v_mul_lo_u32 v19, s1, v2
	v_mad_u32_u24 v6, v1, v5, v0
	s_mul_i32 s16, s1, s2
	s_ashr_i32 s17, s16, 31
	s_and_b32 s1, s16, 63
	v_add_u32_e32 v21, v19, v6
	s_cmp_eq_u32 s1, 0
	v_ashrrev_i32_e32 v5, 31, v21
	s_cbranch_scc1 .LBB1_102
; %bb.9:
	v_and_b32_e32 v24, 64, v20
	v_xor_b32_e32 v22, 1, v21
	v_and_or_b32 v17, v22, 63, v24
	v_lshlrev_b32_e32 v17, 2, v17
	ds_bpermute_b32 v23, v17, v4
	ds_bpermute_b32 v17, v17, v3
	v_xor_b32_e32 v25, 2, v21
	v_cmp_gt_i32_e64 s[2:3], s16, v22
	v_xor_b32_e32 v27, 4, v21
	s_waitcnt lgkmcnt(1)
	v_mov_b32_e32 v18, v23
	s_waitcnt lgkmcnt(0)
	v_cmp_lt_f64_e32 vcc, v[3:4], v[17:18]
	v_and_or_b32 v18, v25, 63, v24
	v_lshlrev_b32_e32 v22, 2, v18
	s_and_b64 vcc, s[2:3], vcc
	v_cndmask_b32_e32 v18, v4, v23, vcc
	v_cndmask_b32_e32 v17, v3, v17, vcc
	ds_bpermute_b32 v26, v22, v18
	ds_bpermute_b32 v22, v22, v17
	v_cmp_gt_i32_e64 s[2:3], s16, v25
	s_waitcnt lgkmcnt(1)
	v_mov_b32_e32 v23, v26
	s_waitcnt lgkmcnt(0)
	v_cmp_lt_f64_e32 vcc, v[17:18], v[22:23]
	v_and_or_b32 v23, v27, 63, v24
	v_lshlrev_b32_e32 v23, 2, v23
	s_and_b64 vcc, s[2:3], vcc
	v_cndmask_b32_e32 v18, v18, v26, vcc
	v_cndmask_b32_e32 v17, v17, v22, vcc
	ds_bpermute_b32 v25, v23, v18
	ds_bpermute_b32 v22, v23, v17
	v_xor_b32_e32 v26, 8, v21
	v_cmp_gt_i32_e64 s[2:3], s16, v27
	v_xor_b32_e32 v27, 16, v21
	s_waitcnt lgkmcnt(1)
	v_mov_b32_e32 v23, v25
	s_waitcnt lgkmcnt(0)
	v_cmp_lt_f64_e32 vcc, v[17:18], v[22:23]
	v_and_or_b32 v23, v26, 63, v24
	v_lshlrev_b32_e32 v23, 2, v23
	s_and_b64 vcc, s[2:3], vcc
	v_cndmask_b32_e32 v18, v18, v25, vcc
	v_cndmask_b32_e32 v17, v17, v22, vcc
	ds_bpermute_b32 v25, v23, v18
	ds_bpermute_b32 v22, v23, v17
	v_cmp_gt_i32_e64 s[2:3], s16, v26
	v_xor_b32_e32 v26, 32, v21
	s_waitcnt lgkmcnt(1)
	v_mov_b32_e32 v23, v25
	s_waitcnt lgkmcnt(0)
	v_cmp_lt_f64_e32 vcc, v[17:18], v[22:23]
	v_and_or_b32 v23, v27, 63, v24
	v_lshlrev_b32_e32 v23, 2, v23
	s_and_b64 vcc, s[2:3], vcc
	v_cndmask_b32_e32 v18, v18, v25, vcc
	v_cndmask_b32_e32 v17, v17, v22, vcc
	ds_bpermute_b32 v25, v23, v18
	ds_bpermute_b32 v22, v23, v17
	v_cmp_gt_i32_e64 s[2:3], s16, v27
	s_waitcnt lgkmcnt(1)
	v_mov_b32_e32 v23, v25
	s_waitcnt lgkmcnt(0)
	v_cmp_lt_f64_e32 vcc, v[17:18], v[22:23]
	v_and_or_b32 v23, v26, 63, v24
	v_lshlrev_b32_e32 v23, 2, v23
	s_and_b64 vcc, s[2:3], vcc
	v_cndmask_b32_e32 v18, v18, v25, vcc
	v_cndmask_b32_e32 v17, v17, v22, vcc
	ds_bpermute_b32 v24, v23, v18
	ds_bpermute_b32 v22, v23, v17
	v_cmp_gt_i32_e64 s[2:3], s16, v26
	s_waitcnt lgkmcnt(1)
	v_mov_b32_e32 v23, v24
	s_waitcnt lgkmcnt(0)
	v_cmp_lt_f64_e32 vcc, v[17:18], v[22:23]
	s_and_b64 vcc, s[2:3], vcc
	v_cndmask_b32_e32 v18, v18, v24, vcc
	v_cndmask_b32_e32 v17, v17, v22, vcc
	s_cbranch_execnz .LBB1_11
.LBB1_10:
	v_and_b32_e32 v17, 64, v20
	v_add_u32_e32 v22, 64, v17
	v_xor_b32_e32 v17, 1, v20
	v_cmp_lt_i32_e32 vcc, v17, v22
	v_cndmask_b32_e32 v17, v20, v17, vcc
	v_lshlrev_b32_e32 v17, 2, v17
	ds_bpermute_b32 v23, v17, v4
	ds_bpermute_b32 v17, v17, v3
	s_waitcnt lgkmcnt(1)
	v_mov_b32_e32 v18, v23
	s_waitcnt lgkmcnt(0)
	v_cmp_lt_f64_e32 vcc, v[3:4], v[17:18]
	v_xor_b32_e32 v18, 2, v20
	v_cmp_lt_i32_e64 s[2:3], v18, v22
	v_cndmask_b32_e64 v18, v20, v18, s[2:3]
	v_lshlrev_b32_e32 v18, 2, v18
	v_cndmask_b32_e32 v4, v4, v23, vcc
	ds_bpermute_b32 v23, v18, v4
	v_cndmask_b32_e32 v3, v3, v17, vcc
	ds_bpermute_b32 v17, v18, v3
	s_waitcnt lgkmcnt(1)
	v_mov_b32_e32 v18, v23
	s_waitcnt lgkmcnt(0)
	v_cmp_lt_f64_e32 vcc, v[3:4], v[17:18]
	v_xor_b32_e32 v18, 4, v20
	v_cmp_lt_i32_e64 s[2:3], v18, v22
	v_cndmask_b32_e64 v18, v20, v18, s[2:3]
	v_lshlrev_b32_e32 v18, 2, v18
	v_cndmask_b32_e32 v4, v4, v23, vcc
	ds_bpermute_b32 v23, v18, v4
	v_cndmask_b32_e32 v3, v3, v17, vcc
	ds_bpermute_b32 v17, v18, v3
	s_waitcnt lgkmcnt(1)
	v_mov_b32_e32 v18, v23
	s_waitcnt lgkmcnt(0)
	v_cmp_lt_f64_e32 vcc, v[3:4], v[17:18]
	v_xor_b32_e32 v18, 8, v20
	v_cmp_lt_i32_e64 s[2:3], v18, v22
	v_cndmask_b32_e64 v18, v20, v18, s[2:3]
	v_lshlrev_b32_e32 v18, 2, v18
	v_cndmask_b32_e32 v4, v4, v23, vcc
	ds_bpermute_b32 v23, v18, v4
	v_cndmask_b32_e32 v3, v3, v17, vcc
	ds_bpermute_b32 v17, v18, v3
	s_waitcnt lgkmcnt(1)
	v_mov_b32_e32 v18, v23
	s_waitcnt lgkmcnt(0)
	v_cmp_lt_f64_e32 vcc, v[3:4], v[17:18]
	v_xor_b32_e32 v18, 16, v20
	v_cmp_lt_i32_e64 s[2:3], v18, v22
	v_cndmask_b32_e64 v18, v20, v18, s[2:3]
	v_lshlrev_b32_e32 v18, 2, v18
	v_cndmask_b32_e32 v4, v4, v23, vcc
	ds_bpermute_b32 v23, v18, v4
	v_cndmask_b32_e32 v3, v3, v17, vcc
	ds_bpermute_b32 v17, v18, v3
	s_waitcnt lgkmcnt(1)
	v_mov_b32_e32 v18, v23
	s_waitcnt lgkmcnt(0)
	v_cmp_lt_f64_e32 vcc, v[3:4], v[17:18]
	v_xor_b32_e32 v18, 32, v20
	v_cmp_lt_i32_e64 s[2:3], v18, v22
	v_cndmask_b32_e64 v18, v20, v18, s[2:3]
	v_lshlrev_b32_e32 v18, 2, v18
	v_cndmask_b32_e32 v4, v4, v23, vcc
	v_cndmask_b32_e32 v3, v3, v17, vcc
	ds_bpermute_b32 v22, v18, v4
	ds_bpermute_b32 v17, v18, v3
	s_waitcnt lgkmcnt(1)
	v_mov_b32_e32 v18, v22
	s_waitcnt lgkmcnt(0)
	v_cmp_lt_f64_e32 vcc, v[3:4], v[17:18]
	v_cndmask_b32_e32 v18, v4, v22, vcc
	v_cndmask_b32_e32 v17, v3, v17, vcc
.LBB1_11:
	s_cmpk_lt_i32 s16, 0x41
	s_cbranch_scc1 .LBB1_19
; %bb.12:
	v_lshrrev_b32_e32 v3, 26, v5
	v_add_u32_e32 v4, v21, v3
	v_and_b32_e32 v3, 0xffffffc0, v4
	v_sub_u32_e32 v3, v21, v3
	v_cmp_eq_u32_e32 vcc, 0, v3
	s_and_saveexec_b64 s[2:3], vcc
; %bb.13:
	v_ashrrev_i32_e32 v4, 6, v4
	v_lshlrev_b32_e32 v4, 3, v4
	ds_write_b64 v4, v[17:18]
; %bb.14:
	s_or_b64 exec, exec, s[2:3]
	v_add_co_u32_e32 v4, vcc, 63, v21
	v_addc_co_u32_e32 v5, vcc, 0, v5, vcc
	s_mov_b64 s[2:3], 0x7f
	v_cmp_gt_u64_e32 vcc, s[2:3], v[4:5]
	s_waitcnt lgkmcnt(0)
	s_barrier
	s_and_saveexec_b64 s[34:35], vcc
	s_cbranch_execz .LBB1_18
; %bb.15:
	v_ashrrev_i32_e32 v4, 31, v3
	v_lshlrev_b64 v[4:5], 6, v[3:4]
	v_cmp_gt_i64_e32 vcc, s[16:17], v[4:5]
	v_mov_b32_e32 v4, s22
	v_mov_b32_e32 v5, s23
	s_and_saveexec_b64 s[2:3], vcc
; %bb.16:
	v_lshlrev_b32_e32 v3, 3, v3
	ds_read_b64 v[4:5], v3
; %bb.17:
	s_or_b64 exec, exec, s[2:3]
	v_and_b32_e32 v3, 64, v20
	v_add_u32_e32 v3, 64, v3
	v_xor_b32_e32 v17, 1, v20
	v_cmp_lt_i32_e32 vcc, v17, v3
	v_cndmask_b32_e32 v17, v20, v17, vcc
	v_lshlrev_b32_e32 v17, 2, v17
	s_waitcnt lgkmcnt(0)
	ds_bpermute_b32 v21, v17, v5
	ds_bpermute_b32 v17, v17, v4
	s_waitcnt lgkmcnt(1)
	v_mov_b32_e32 v18, v21
	s_waitcnt lgkmcnt(0)
	v_cmp_lt_f64_e32 vcc, v[4:5], v[17:18]
	v_xor_b32_e32 v18, 2, v20
	v_cmp_lt_i32_e64 s[2:3], v18, v3
	v_cndmask_b32_e64 v18, v20, v18, s[2:3]
	v_lshlrev_b32_e32 v18, 2, v18
	v_cndmask_b32_e32 v5, v5, v21, vcc
	ds_bpermute_b32 v21, v18, v5
	v_cndmask_b32_e32 v4, v4, v17, vcc
	ds_bpermute_b32 v17, v18, v4
	s_waitcnt lgkmcnt(1)
	v_mov_b32_e32 v18, v21
	s_waitcnt lgkmcnt(0)
	v_cmp_lt_f64_e32 vcc, v[4:5], v[17:18]
	v_xor_b32_e32 v18, 4, v20
	v_cmp_lt_i32_e64 s[2:3], v18, v3
	v_cndmask_b32_e64 v18, v20, v18, s[2:3]
	v_lshlrev_b32_e32 v18, 2, v18
	v_cndmask_b32_e32 v5, v5, v21, vcc
	ds_bpermute_b32 v21, v18, v5
	v_cndmask_b32_e32 v4, v4, v17, vcc
	ds_bpermute_b32 v17, v18, v4
	s_waitcnt lgkmcnt(1)
	v_mov_b32_e32 v18, v21
	s_waitcnt lgkmcnt(0)
	v_cmp_lt_f64_e32 vcc, v[4:5], v[17:18]
	v_xor_b32_e32 v18, 8, v20
	v_cmp_lt_i32_e64 s[2:3], v18, v3
	v_cndmask_b32_e64 v3, v20, v18, s[2:3]
	v_lshlrev_b32_e32 v3, 2, v3
	v_cndmask_b32_e32 v5, v5, v21, vcc
	v_cndmask_b32_e32 v4, v4, v17, vcc
	ds_bpermute_b32 v20, v3, v5
	ds_bpermute_b32 v17, v3, v4
	s_waitcnt lgkmcnt(1)
	v_mov_b32_e32 v18, v20
	s_waitcnt lgkmcnt(0)
	v_cmp_lt_f64_e32 vcc, v[4:5], v[17:18]
	v_cndmask_b32_e32 v18, v5, v20, vcc
	v_cndmask_b32_e32 v17, v4, v17, vcc
.LBB1_18:
	s_or_b64 exec, exec, s[34:35]
	s_barrier
.LBB1_19:
	v_cmp_neq_f64_e32 vcc, s[22:23], v[17:18]
	v_sub_u32_e32 v3, 0, v19
	v_cmp_eq_u32_e64 s[2:3], v6, v3
	s_and_b64 s[2:3], s[2:3], vcc
	s_and_saveexec_b64 s[16:17], s[2:3]
	s_cbranch_execz .LBB1_23
; %bb.20:
	s_mul_i32 s1, s11, s8
	s_add_i32 s1, s1, s0
	s_mul_i32 s1, s1, s10
	s_add_i32 s1, s1, s6
	s_ashr_i32 s2, s1, 31
	s_lshr_b32 s2, s2, 27
	s_add_i32 s2, s1, s2
	s_and_b32 s2, s2, 0x1fffffe0
	s_sub_i32 s1, s1, s2
	s_lshl_b32 s2, s1, 3
	s_ashr_i32 s3, s2, 31
	s_lshl_b64 s[2:3], s[2:3], 3
	s_add_u32 s2, s18, s2
	s_addc_u32 s3, s19, s3
	v_mov_b32_e32 v4, s3
	v_mov_b32_e32 v3, s2
	flat_load_dwordx2 v[5:6], v[3:4] glc
	s_waitcnt vmcnt(0) lgkmcnt(0)
	v_cmp_nle_f64_e32 vcc, v[17:18], v[5:6]
	s_and_b64 exec, exec, vcc
	s_cbranch_execz .LBB1_23
; %bb.21:
	v_mov_b32_e32 v20, s3
	s_mov_b64 s[10:11], 0
	v_mov_b32_e32 v19, s2
.LBB1_22:                               ; =>This Inner Loop Header: Depth=1
	v_cmp_lt_f64_e32 vcc, v[5:6], v[17:18]
	v_cndmask_b32_e32 v4, v6, v18, vcc
	v_cndmask_b32_e32 v3, v5, v17, vcc
	flat_atomic_cmpswap_x2 v[3:4], v[19:20], v[3:6] glc
	s_waitcnt vmcnt(0) lgkmcnt(0)
	v_cmp_le_f64_e32 vcc, v[17:18], v[3:4]
	v_cmp_eq_u64_e64 s[2:3], v[3:4], v[5:6]
	v_mov_b32_e32 v6, v4
	v_mov_b32_e32 v5, v3
	s_or_b64 s[2:3], s[2:3], vcc
	s_and_b64 s[2:3], exec, s[2:3]
	s_or_b64 s[10:11], s[2:3], s[10:11]
	s_andn2_b64 exec, exec, s[10:11]
	s_cbranch_execnz .LBB1_22
.LBB1_23:
	s_or_b64 exec, exec, s[16:17]
	s_load_dwordx4 s[16:19], s[4:5], 0x80
	s_cmp_lg_u64 s[12:13], 0
	s_cbranch_scc1 .LBB1_3
.LBB1_24:
	s_load_dwordx2 s[10:11], s[4:5], 0x118
	s_add_u32 s1, s4, 0x118
	v_mov_b32_e32 v3, 0
	s_addc_u32 s3, s5, 0
	global_load_dword v4, v3, s[4:5] offset:294
	s_waitcnt lgkmcnt(0)
	s_cmp_lt_u32 s6, s10
	s_cselect_b32 s2, 12, 18
	s_add_u32 s2, s1, s2
	s_addc_u32 s3, s3, 0
	global_load_ushort v3, v3, s[2:3]
	v_mbcnt_lo_u32_b32 v17, -1, 0
	v_mbcnt_hi_u32_b32 v20, -1, v17
	s_waitcnt vmcnt(1)
	v_readfirstlane_b32 s1, v4
	s_lshr_b32 s2, s1, 16
	s_and_b32 s1, s1, 0xffff
	s_waitcnt vmcnt(0)
	v_readfirstlane_b32 s3, v3
	s_mul_i32 s1, s1, s3
	v_mul_lo_u32 v19, s1, v2
	v_mad_u32_u24 v6, v1, v3, v0
	s_mul_i32 s12, s1, s2
	s_ashr_i32 s13, s12, 31
	s_and_b32 s1, s12, 63
	v_add_u32_e32 v5, v19, v6
	s_cmp_eq_u32 s1, 0
	v_ashrrev_i32_e32 v4, 31, v5
	s_cbranch_scc1 .LBB1_103
; %bb.25:
	v_and_b32_e32 v3, 64, v20
	v_xor_b32_e32 v21, 1, v5
	v_and_or_b32 v17, v21, 63, v3
	v_lshlrev_b32_e32 v17, 2, v17
	ds_bpermute_b32 v22, v17, v16
	ds_bpermute_b32 v17, v17, v15
	v_xor_b32_e32 v23, 2, v5
	v_cmp_gt_i32_e64 s[2:3], s12, v21
	v_xor_b32_e32 v25, 4, v5
	s_waitcnt lgkmcnt(1)
	v_mov_b32_e32 v18, v22
	s_waitcnt lgkmcnt(0)
	v_cmp_gt_f64_e32 vcc, v[15:16], v[17:18]
	v_and_or_b32 v18, v23, 63, v3
	v_lshlrev_b32_e32 v21, 2, v18
	s_and_b64 vcc, s[2:3], vcc
	v_cndmask_b32_e32 v18, v16, v22, vcc
	v_cndmask_b32_e32 v17, v15, v17, vcc
	ds_bpermute_b32 v24, v21, v18
	ds_bpermute_b32 v21, v21, v17
	v_cmp_gt_i32_e64 s[2:3], s12, v23
	s_waitcnt lgkmcnt(1)
	v_mov_b32_e32 v22, v24
	s_waitcnt lgkmcnt(0)
	v_cmp_gt_f64_e32 vcc, v[17:18], v[21:22]
	v_and_or_b32 v22, v25, 63, v3
	v_lshlrev_b32_e32 v22, 2, v22
	s_and_b64 vcc, s[2:3], vcc
	v_cndmask_b32_e32 v18, v18, v24, vcc
	v_cndmask_b32_e32 v17, v17, v21, vcc
	ds_bpermute_b32 v23, v22, v18
	ds_bpermute_b32 v21, v22, v17
	v_xor_b32_e32 v24, 8, v5
	v_cmp_gt_i32_e64 s[2:3], s12, v25
	v_xor_b32_e32 v25, 16, v5
	s_waitcnt lgkmcnt(1)
	v_mov_b32_e32 v22, v23
	s_waitcnt lgkmcnt(0)
	v_cmp_gt_f64_e32 vcc, v[17:18], v[21:22]
	v_and_or_b32 v22, v24, 63, v3
	v_lshlrev_b32_e32 v22, 2, v22
	s_and_b64 vcc, s[2:3], vcc
	v_cndmask_b32_e32 v18, v18, v23, vcc
	v_cndmask_b32_e32 v17, v17, v21, vcc
	ds_bpermute_b32 v23, v22, v18
	ds_bpermute_b32 v21, v22, v17
	v_cmp_gt_i32_e64 s[2:3], s12, v24
	v_xor_b32_e32 v24, 32, v5
	s_waitcnt lgkmcnt(1)
	v_mov_b32_e32 v22, v23
	s_waitcnt lgkmcnt(0)
	v_cmp_gt_f64_e32 vcc, v[17:18], v[21:22]
	v_and_or_b32 v22, v25, 63, v3
	v_lshlrev_b32_e32 v22, 2, v22
	v_and_or_b32 v3, v24, 63, v3
	v_lshlrev_b32_e32 v3, 2, v3
	s_and_b64 vcc, s[2:3], vcc
	v_cndmask_b32_e32 v18, v18, v23, vcc
	v_cndmask_b32_e32 v17, v17, v21, vcc
	ds_bpermute_b32 v23, v22, v18
	ds_bpermute_b32 v21, v22, v17
	v_cmp_gt_i32_e64 s[2:3], s12, v25
	s_waitcnt lgkmcnt(1)
	v_mov_b32_e32 v22, v23
	s_waitcnt lgkmcnt(0)
	v_cmp_gt_f64_e32 vcc, v[17:18], v[21:22]
	s_and_b64 vcc, s[2:3], vcc
	v_cndmask_b32_e32 v18, v18, v23, vcc
	v_cndmask_b32_e32 v17, v17, v21, vcc
	ds_bpermute_b32 v23, v3, v18
	ds_bpermute_b32 v21, v3, v17
	v_cmp_gt_i32_e64 s[2:3], s12, v24
	s_waitcnt lgkmcnt(1)
	v_mov_b32_e32 v22, v23
	s_waitcnt lgkmcnt(0)
	v_cmp_gt_f64_e32 vcc, v[17:18], v[21:22]
	s_and_b64 vcc, s[2:3], vcc
	v_cndmask_b32_e32 v18, v18, v23, vcc
	v_cndmask_b32_e32 v17, v17, v21, vcc
	s_cbranch_execnz .LBB1_27
.LBB1_26:
	v_and_b32_e32 v3, 64, v20
	v_add_u32_e32 v3, 64, v3
	v_xor_b32_e32 v17, 1, v20
	v_cmp_lt_i32_e32 vcc, v17, v3
	v_cndmask_b32_e32 v17, v20, v17, vcc
	v_lshlrev_b32_e32 v17, 2, v17
	ds_bpermute_b32 v21, v17, v16
	ds_bpermute_b32 v17, v17, v15
	s_waitcnt lgkmcnt(1)
	v_mov_b32_e32 v18, v21
	s_waitcnt lgkmcnt(0)
	v_cmp_gt_f64_e32 vcc, v[15:16], v[17:18]
	v_xor_b32_e32 v18, 2, v20
	v_cmp_lt_i32_e64 s[2:3], v18, v3
	v_cndmask_b32_e64 v18, v20, v18, s[2:3]
	v_lshlrev_b32_e32 v18, 2, v18
	v_cndmask_b32_e32 v16, v16, v21, vcc
	ds_bpermute_b32 v21, v18, v16
	v_cndmask_b32_e32 v15, v15, v17, vcc
	ds_bpermute_b32 v17, v18, v15
	s_waitcnt lgkmcnt(1)
	v_mov_b32_e32 v18, v21
	s_waitcnt lgkmcnt(0)
	v_cmp_gt_f64_e32 vcc, v[15:16], v[17:18]
	v_xor_b32_e32 v18, 4, v20
	v_cmp_lt_i32_e64 s[2:3], v18, v3
	v_cndmask_b32_e64 v18, v20, v18, s[2:3]
	v_lshlrev_b32_e32 v18, 2, v18
	v_cndmask_b32_e32 v16, v16, v21, vcc
	ds_bpermute_b32 v21, v18, v16
	v_cndmask_b32_e32 v15, v15, v17, vcc
	;; [unrolled: 12-line block ×4, first 2 shown]
	ds_bpermute_b32 v17, v18, v15
	s_waitcnt lgkmcnt(1)
	v_mov_b32_e32 v18, v21
	s_waitcnt lgkmcnt(0)
	v_cmp_gt_f64_e32 vcc, v[15:16], v[17:18]
	v_xor_b32_e32 v18, 32, v20
	v_cmp_lt_i32_e64 s[2:3], v18, v3
	v_cndmask_b32_e64 v3, v20, v18, s[2:3]
	v_lshlrev_b32_e32 v3, 2, v3
	v_cndmask_b32_e32 v16, v16, v21, vcc
	v_cndmask_b32_e32 v15, v15, v17, vcc
	ds_bpermute_b32 v21, v3, v16
	ds_bpermute_b32 v17, v3, v15
	s_waitcnt lgkmcnt(1)
	v_mov_b32_e32 v18, v21
	s_waitcnt lgkmcnt(0)
	v_cmp_gt_f64_e32 vcc, v[15:16], v[17:18]
	v_cndmask_b32_e32 v18, v16, v21, vcc
	v_cndmask_b32_e32 v17, v15, v17, vcc
.LBB1_27:
	s_cmpk_lt_i32 s12, 0x41
	s_cbranch_scc1 .LBB1_35
; %bb.28:
	v_lshrrev_b32_e32 v3, 26, v4
	v_add_u32_e32 v15, v5, v3
	v_and_b32_e32 v3, 0xffffffc0, v15
	v_sub_u32_e32 v3, v5, v3
	v_cmp_eq_u32_e32 vcc, 0, v3
	s_and_saveexec_b64 s[2:3], vcc
; %bb.29:
	v_ashrrev_i32_e32 v15, 6, v15
	v_lshlrev_b32_e32 v15, 3, v15
	ds_write_b64 v15, v[17:18] offset:128
; %bb.30:
	s_or_b64 exec, exec, s[2:3]
	v_add_co_u32_e32 v15, vcc, 63, v5
	v_addc_co_u32_e32 v16, vcc, 0, v4, vcc
	s_mov_b64 s[2:3], 0x7f
	v_cmp_gt_u64_e32 vcc, s[2:3], v[15:16]
	s_waitcnt lgkmcnt(0)
	s_barrier
	s_and_saveexec_b64 s[22:23], vcc
	s_cbranch_execz .LBB1_34
; %bb.31:
	v_ashrrev_i32_e32 v4, 31, v3
	v_lshlrev_b64 v[4:5], 6, v[3:4]
	v_cmp_gt_i64_e32 vcc, s[12:13], v[4:5]
	v_mov_b32_e32 v4, s20
	v_mov_b32_e32 v5, s21
	s_and_saveexec_b64 s[2:3], vcc
; %bb.32:
	v_lshlrev_b32_e32 v3, 3, v3
	ds_read_b64 v[4:5], v3 offset:128
; %bb.33:
	s_or_b64 exec, exec, s[2:3]
	v_and_b32_e32 v3, 64, v20
	v_add_u32_e32 v3, 64, v3
	v_xor_b32_e32 v15, 1, v20
	v_cmp_lt_i32_e32 vcc, v15, v3
	v_cndmask_b32_e32 v15, v20, v15, vcc
	v_lshlrev_b32_e32 v15, 2, v15
	s_waitcnt lgkmcnt(0)
	ds_bpermute_b32 v17, v15, v5
	ds_bpermute_b32 v15, v15, v4
	s_waitcnt lgkmcnt(1)
	v_mov_b32_e32 v16, v17
	s_waitcnt lgkmcnt(0)
	v_cmp_gt_f64_e32 vcc, v[4:5], v[15:16]
	v_xor_b32_e32 v16, 2, v20
	v_cmp_lt_i32_e64 s[2:3], v16, v3
	v_cndmask_b32_e64 v16, v20, v16, s[2:3]
	v_lshlrev_b32_e32 v16, 2, v16
	v_cndmask_b32_e32 v5, v5, v17, vcc
	ds_bpermute_b32 v17, v16, v5
	v_cndmask_b32_e32 v4, v4, v15, vcc
	ds_bpermute_b32 v15, v16, v4
	s_waitcnt lgkmcnt(1)
	v_mov_b32_e32 v16, v17
	s_waitcnt lgkmcnt(0)
	v_cmp_gt_f64_e32 vcc, v[4:5], v[15:16]
	v_xor_b32_e32 v16, 4, v20
	v_cmp_lt_i32_e64 s[2:3], v16, v3
	v_cndmask_b32_e64 v16, v20, v16, s[2:3]
	v_lshlrev_b32_e32 v16, 2, v16
	v_cndmask_b32_e32 v5, v5, v17, vcc
	ds_bpermute_b32 v17, v16, v5
	v_cndmask_b32_e32 v4, v4, v15, vcc
	ds_bpermute_b32 v15, v16, v4
	s_waitcnt lgkmcnt(1)
	v_mov_b32_e32 v16, v17
	s_waitcnt lgkmcnt(0)
	v_cmp_gt_f64_e32 vcc, v[4:5], v[15:16]
	v_xor_b32_e32 v16, 8, v20
	v_cmp_lt_i32_e64 s[2:3], v16, v3
	v_cndmask_b32_e64 v3, v20, v16, s[2:3]
	v_lshlrev_b32_e32 v3, 2, v3
	v_cndmask_b32_e32 v5, v5, v17, vcc
	v_cndmask_b32_e32 v4, v4, v15, vcc
	ds_bpermute_b32 v17, v3, v5
	ds_bpermute_b32 v15, v3, v4
	s_waitcnt lgkmcnt(1)
	v_mov_b32_e32 v16, v17
	s_waitcnt lgkmcnt(0)
	v_cmp_gt_f64_e32 vcc, v[4:5], v[15:16]
	v_cndmask_b32_e32 v18, v5, v17, vcc
	v_cndmask_b32_e32 v17, v4, v15, vcc
.LBB1_34:
	s_or_b64 exec, exec, s[22:23]
	s_barrier
.LBB1_35:
	v_cmp_neq_f64_e32 vcc, s[20:21], v[17:18]
	v_sub_u32_e32 v3, 0, v19
	v_cmp_eq_u32_e64 s[2:3], v6, v3
	s_and_b64 s[2:3], s[2:3], vcc
	s_and_saveexec_b64 s[12:13], s[2:3]
	s_cbranch_execz .LBB1_39
; %bb.36:
	s_mul_i32 s1, s11, s8
	s_add_i32 s1, s1, s0
	s_mul_i32 s1, s1, s10
	s_add_i32 s1, s1, s6
	s_ashr_i32 s2, s1, 31
	s_lshr_b32 s2, s2, 27
	s_add_i32 s2, s1, s2
	s_and_b32 s2, s2, 0x1fffffe0
	s_sub_i32 s1, s1, s2
	s_lshl_b32 s2, s1, 3
	s_ashr_i32 s3, s2, 31
	s_lshl_b64 s[2:3], s[2:3], 3
	s_add_u32 s2, s14, s2
	s_addc_u32 s3, s15, s3
	v_mov_b32_e32 v4, s3
	v_mov_b32_e32 v3, s2
	flat_load_dwordx2 v[5:6], v[3:4] glc
	s_waitcnt vmcnt(0) lgkmcnt(0)
	v_cmp_nge_f64_e32 vcc, v[17:18], v[5:6]
	s_and_b64 exec, exec, vcc
	s_cbranch_execz .LBB1_39
; %bb.37:
	v_mov_b32_e32 v16, s3
	s_mov_b64 s[10:11], 0
	v_mov_b32_e32 v15, s2
.LBB1_38:                               ; =>This Inner Loop Header: Depth=1
	v_cmp_lt_f64_e32 vcc, v[17:18], v[5:6]
	v_cndmask_b32_e32 v4, v6, v18, vcc
	v_cndmask_b32_e32 v3, v5, v17, vcc
	flat_atomic_cmpswap_x2 v[3:4], v[15:16], v[3:6] glc
	s_waitcnt vmcnt(0) lgkmcnt(0)
	v_cmp_ge_f64_e32 vcc, v[17:18], v[3:4]
	v_cmp_eq_u64_e64 s[2:3], v[3:4], v[5:6]
	v_mov_b32_e32 v6, v4
	v_mov_b32_e32 v5, v3
	s_or_b64 s[2:3], s[2:3], vcc
	s_and_b64 s[2:3], exec, s[2:3]
	s_or_b64 s[10:11], s[2:3], s[10:11]
	s_andn2_b64 exec, exec, s[10:11]
	s_cbranch_execnz .LBB1_38
.LBB1_39:
	s_or_b64 exec, exec, s[12:13]
	s_load_dwordx4 s[20:23], s[4:5], 0x58
	s_cmp_lg_u64 s[16:17], 0
	s_cbranch_scc1 .LBB1_4
.LBB1_40:
	s_load_dwordx2 s[10:11], s[4:5], 0x118
	s_add_u32 s1, s4, 0x118
	v_mov_b32_e32 v3, 0
	s_addc_u32 s3, s5, 0
	global_load_dword v4, v3, s[4:5] offset:294
	s_waitcnt lgkmcnt(0)
	s_cmp_lt_u32 s6, s10
	s_cselect_b32 s2, 12, 18
	s_add_u32 s2, s1, s2
	s_addc_u32 s3, s3, 0
	global_load_ushort v3, v3, s[2:3]
	v_mbcnt_lo_u32_b32 v15, -1, 0
	v_mbcnt_hi_u32_b32 v18, -1, v15
	s_waitcnt vmcnt(1)
	v_readfirstlane_b32 s1, v4
	s_lshr_b32 s2, s1, 16
	s_and_b32 s1, s1, 0xffff
	s_waitcnt vmcnt(0)
	v_readfirstlane_b32 s3, v3
	s_mul_i32 s1, s1, s3
	v_mul_lo_u32 v17, s1, v2
	v_mad_u32_u24 v6, v1, v3, v0
	s_mul_i32 s2, s1, s2
	s_ashr_i32 s3, s2, 31
	s_and_b32 s1, s2, 63
	v_add_u32_e32 v5, v17, v6
	s_cmp_eq_u32 s1, 0
	v_ashrrev_i32_e32 v4, 31, v5
	s_cbranch_scc1 .LBB1_104
; %bb.41:
	v_and_b32_e32 v3, 64, v18
	v_xor_b32_e32 v19, 1, v5
	v_and_or_b32 v15, v19, 63, v3
	v_lshlrev_b32_e32 v16, 2, v15
	ds_bpermute_b32 v15, v16, v13
	ds_bpermute_b32 v16, v16, v14
	v_xor_b32_e32 v21, 2, v5
	v_and_or_b32 v20, v21, 63, v3
	v_cmp_gt_i32_e32 vcc, s2, v19
	v_lshlrev_b32_e32 v20, 2, v20
	s_waitcnt lgkmcnt(0)
	v_add_f64 v[15:16], v[13:14], v[15:16]
	v_xor_b32_e32 v22, 4, v5
	v_and_or_b32 v23, v22, 63, v3
	v_lshlrev_b32_e32 v23, 2, v23
	v_cndmask_b32_e32 v16, v14, v16, vcc
	v_cndmask_b32_e32 v15, v13, v15, vcc
	ds_bpermute_b32 v19, v20, v15
	ds_bpermute_b32 v20, v20, v16
	v_cmp_gt_i32_e32 vcc, s2, v21
	v_xor_b32_e32 v21, 8, v5
	s_waitcnt lgkmcnt(0)
	v_add_f64 v[19:20], v[15:16], v[19:20]
	v_cndmask_b32_e32 v16, v16, v20, vcc
	v_cndmask_b32_e32 v15, v15, v19, vcc
	ds_bpermute_b32 v19, v23, v15
	ds_bpermute_b32 v20, v23, v16
	v_and_or_b32 v23, v21, 63, v3
	v_cmp_gt_i32_e32 vcc, s2, v22
	v_lshlrev_b32_e32 v23, 2, v23
	v_xor_b32_e32 v22, 16, v5
	s_waitcnt lgkmcnt(0)
	v_add_f64 v[19:20], v[15:16], v[19:20]
	v_cndmask_b32_e32 v16, v16, v20, vcc
	v_cndmask_b32_e32 v15, v15, v19, vcc
	ds_bpermute_b32 v19, v23, v15
	ds_bpermute_b32 v20, v23, v16
	v_and_or_b32 v23, v22, 63, v3
	v_cmp_gt_i32_e32 vcc, s2, v21
	v_lshlrev_b32_e32 v23, 2, v23
	v_xor_b32_e32 v21, 32, v5
	s_waitcnt lgkmcnt(0)
	v_add_f64 v[19:20], v[15:16], v[19:20]
	v_and_or_b32 v3, v21, 63, v3
	v_lshlrev_b32_e32 v3, 2, v3
	v_cndmask_b32_e32 v16, v16, v20, vcc
	v_cndmask_b32_e32 v15, v15, v19, vcc
	ds_bpermute_b32 v19, v23, v15
	ds_bpermute_b32 v20, v23, v16
	v_cmp_gt_i32_e32 vcc, s2, v22
	s_waitcnt lgkmcnt(0)
	v_add_f64 v[19:20], v[15:16], v[19:20]
	v_cndmask_b32_e32 v16, v16, v20, vcc
	v_cndmask_b32_e32 v15, v15, v19, vcc
	ds_bpermute_b32 v19, v3, v15
	ds_bpermute_b32 v20, v3, v16
	v_cmp_gt_i32_e32 vcc, s2, v21
	s_waitcnt lgkmcnt(0)
	v_add_f64 v[19:20], v[15:16], v[19:20]
	v_cndmask_b32_e32 v16, v16, v20, vcc
	v_cndmask_b32_e32 v15, v15, v19, vcc
	s_cbranch_execnz .LBB1_43
.LBB1_42:
	v_and_b32_e32 v3, 64, v18
	v_add_u32_e32 v3, 64, v3
	v_xor_b32_e32 v15, 1, v18
	v_cmp_lt_i32_e32 vcc, v15, v3
	v_cndmask_b32_e32 v15, v18, v15, vcc
	v_lshlrev_b32_e32 v16, 2, v15
	ds_bpermute_b32 v15, v16, v13
	ds_bpermute_b32 v16, v16, v14
	s_waitcnt lgkmcnt(0)
	v_add_f64 v[13:14], v[13:14], v[15:16]
	v_xor_b32_e32 v15, 2, v18
	v_cmp_lt_i32_e32 vcc, v15, v3
	v_cndmask_b32_e32 v15, v18, v15, vcc
	v_lshlrev_b32_e32 v16, 2, v15
	ds_bpermute_b32 v15, v16, v13
	ds_bpermute_b32 v16, v16, v14
	s_waitcnt lgkmcnt(0)
	v_add_f64 v[13:14], v[13:14], v[15:16]
	;; [unrolled: 8-line block ×6, first 2 shown]
.LBB1_43:
	s_cmpk_lt_i32 s2, 0x41
	s_cbranch_scc1 .LBB1_51
; %bb.44:
	v_lshrrev_b32_e32 v3, 26, v4
	v_add_u32_e32 v13, v5, v3
	v_and_b32_e32 v3, 0xffffffc0, v13
	v_sub_u32_e32 v3, v5, v3
	v_cmp_eq_u32_e32 vcc, 0, v3
	s_and_saveexec_b64 s[12:13], vcc
; %bb.45:
	v_ashrrev_i32_e32 v13, 6, v13
	v_lshlrev_b32_e32 v13, 3, v13
	ds_write_b64 v13, v[15:16] offset:256
; %bb.46:
	s_or_b64 exec, exec, s[12:13]
	v_add_co_u32_e32 v13, vcc, 63, v5
	v_addc_co_u32_e32 v14, vcc, 0, v4, vcc
	s_mov_b64 s[12:13], 0x7f
	v_cmp_gt_u64_e32 vcc, s[12:13], v[13:14]
	s_waitcnt lgkmcnt(0)
	s_barrier
	s_and_saveexec_b64 s[12:13], vcc
	s_cbranch_execz .LBB1_50
; %bb.47:
	v_ashrrev_i32_e32 v4, 31, v3
	v_lshlrev_b64 v[4:5], 6, v[3:4]
	v_cmp_gt_i64_e32 vcc, s[2:3], v[4:5]
	v_mov_b32_e32 v4, s30
	v_mov_b32_e32 v5, s31
	s_and_saveexec_b64 s[2:3], vcc
; %bb.48:
	v_lshlrev_b32_e32 v3, 3, v3
	ds_read_b64 v[4:5], v3 offset:256
; %bb.49:
	s_or_b64 exec, exec, s[2:3]
	v_and_b32_e32 v3, 64, v18
	v_add_u32_e32 v15, 64, v3
	v_xor_b32_e32 v3, 1, v18
	v_cmp_lt_i32_e32 vcc, v3, v15
	v_cndmask_b32_e32 v3, v18, v3, vcc
	v_lshlrev_b32_e32 v3, 2, v3
	s_waitcnt lgkmcnt(0)
	ds_bpermute_b32 v13, v3, v4
	ds_bpermute_b32 v14, v3, v5
	s_waitcnt lgkmcnt(0)
	v_add_f64 v[3:4], v[4:5], v[13:14]
	v_xor_b32_e32 v5, 2, v18
	v_cmp_lt_i32_e32 vcc, v5, v15
	v_cndmask_b32_e32 v5, v18, v5, vcc
	v_lshlrev_b32_e32 v5, 2, v5
	ds_bpermute_b32 v13, v5, v3
	ds_bpermute_b32 v14, v5, v4
	v_xor_b32_e32 v5, 4, v18
	v_cmp_lt_i32_e32 vcc, v5, v15
	v_cndmask_b32_e32 v5, v18, v5, vcc
	v_lshlrev_b32_e32 v5, 2, v5
	s_waitcnt lgkmcnt(0)
	v_add_f64 v[3:4], v[3:4], v[13:14]
	ds_bpermute_b32 v13, v5, v3
	ds_bpermute_b32 v14, v5, v4
	v_xor_b32_e32 v5, 8, v18
	v_cmp_lt_i32_e32 vcc, v5, v15
	v_cndmask_b32_e32 v5, v18, v5, vcc
	v_lshlrev_b32_e32 v5, 2, v5
	s_waitcnt lgkmcnt(0)
	v_add_f64 v[3:4], v[3:4], v[13:14]
	ds_bpermute_b32 v13, v5, v3
	ds_bpermute_b32 v14, v5, v4
	s_waitcnt lgkmcnt(0)
	v_add_f64 v[15:16], v[3:4], v[13:14]
.LBB1_50:
	s_or_b64 exec, exec, s[12:13]
	s_barrier
.LBB1_51:
	v_cmp_neq_f64_e32 vcc, s[30:31], v[15:16]
	v_sub_u32_e32 v3, 0, v17
	v_cmp_eq_u32_e64 s[2:3], v6, v3
	s_and_b64 s[12:13], s[2:3], vcc
	s_and_saveexec_b64 s[2:3], s[12:13]
	s_cbranch_execz .LBB1_54
; %bb.52:
	s_mul_i32 s1, s11, s8
	s_add_i32 s1, s1, s0
	s_mul_i32 s1, s1, s10
	s_add_i32 s1, s1, s6
	s_ashr_i32 s7, s1, 31
	s_lshr_b32 s7, s7, 27
	s_add_i32 s7, s1, s7
	s_and_b32 s7, s7, 0x1fffffe0
	s_sub_i32 s1, s1, s7
	s_lshl_b32 s10, s1, 3
	s_ashr_i32 s11, s10, 31
	s_lshl_b64 s[10:11], s[10:11], 3
	s_add_u32 s10, s18, s10
	s_addc_u32 s11, s19, s11
	v_mov_b32_e32 v14, s11
	v_mov_b32_e32 v13, s10
	flat_load_dwordx2 v[5:6], v[13:14]
	s_mov_b64 s[10:11], 0
.LBB1_53:                               ; =>This Inner Loop Header: Depth=1
	s_waitcnt vmcnt(0) lgkmcnt(0)
	v_add_f64 v[3:4], v[5:6], v[15:16]
	flat_atomic_cmpswap_x2 v[3:4], v[13:14], v[3:6] glc
	s_waitcnt vmcnt(0) lgkmcnt(0)
	v_cmp_eq_u64_e32 vcc, v[3:4], v[5:6]
	v_mov_b32_e32 v6, v4
	s_or_b64 s[10:11], vcc, s[10:11]
	v_mov_b32_e32 v5, v3
	s_andn2_b64 exec, exec, s[10:11]
	s_cbranch_execnz .LBB1_53
.LBB1_54:
	s_or_b64 exec, exec, s[2:3]
	s_load_dwordx4 s[12:15], s[4:5], 0x30
	s_cmp_lg_u64 s[20:21], 0
	s_cbranch_scc1 .LBB1_5
.LBB1_55:
	s_load_dwordx2 s[10:11], s[4:5], 0x118
	s_add_u32 s1, s4, 0x118
	v_mov_b32_e32 v3, 0
	s_addc_u32 s3, s5, 0
	global_load_dword v4, v3, s[4:5] offset:294
	s_waitcnt lgkmcnt(0)
	s_cmp_lt_u32 s6, s10
	s_cselect_b32 s2, 12, 18
	s_add_u32 s2, s1, s2
	s_addc_u32 s3, s3, 0
	global_load_ushort v3, v3, s[2:3]
	v_mbcnt_lo_u32_b32 v13, -1, 0
	v_mbcnt_hi_u32_b32 v16, -1, v13
	s_waitcnt vmcnt(1)
	v_readfirstlane_b32 s1, v4
	s_lshr_b32 s2, s1, 16
	s_and_b32 s1, s1, 0xffff
	s_waitcnt vmcnt(0)
	v_readfirstlane_b32 s3, v3
	s_mul_i32 s1, s1, s3
	v_mul_lo_u32 v15, s1, v2
	v_mad_u32_u24 v6, v1, v3, v0
	s_mul_i32 s16, s1, s2
	s_ashr_i32 s17, s16, 31
	s_and_b32 s1, s16, 63
	v_add_u32_e32 v5, v15, v6
	s_cmp_eq_u32 s1, 0
	v_ashrrev_i32_e32 v4, 31, v5
	s_cbranch_scc1 .LBB1_105
; %bb.56:
	v_and_b32_e32 v3, 64, v16
	v_xor_b32_e32 v17, 1, v5
	v_and_or_b32 v13, v17, 63, v3
	v_lshlrev_b32_e32 v13, 2, v13
	ds_bpermute_b32 v18, v13, v12
	ds_bpermute_b32 v13, v13, v11
	v_xor_b32_e32 v19, 2, v5
	v_cmp_gt_i32_e64 s[2:3], s16, v17
	v_xor_b32_e32 v21, 4, v5
	s_waitcnt lgkmcnt(1)
	v_mov_b32_e32 v14, v18
	s_waitcnt lgkmcnt(0)
	v_cmp_lt_f64_e32 vcc, v[11:12], v[13:14]
	v_and_or_b32 v14, v19, 63, v3
	v_lshlrev_b32_e32 v17, 2, v14
	s_and_b64 vcc, s[2:3], vcc
	v_cndmask_b32_e32 v14, v12, v18, vcc
	v_cndmask_b32_e32 v13, v11, v13, vcc
	ds_bpermute_b32 v20, v17, v14
	ds_bpermute_b32 v17, v17, v13
	v_cmp_gt_i32_e64 s[2:3], s16, v19
	s_waitcnt lgkmcnt(1)
	v_mov_b32_e32 v18, v20
	s_waitcnt lgkmcnt(0)
	v_cmp_lt_f64_e32 vcc, v[13:14], v[17:18]
	v_and_or_b32 v18, v21, 63, v3
	v_lshlrev_b32_e32 v18, 2, v18
	s_and_b64 vcc, s[2:3], vcc
	v_cndmask_b32_e32 v14, v14, v20, vcc
	v_cndmask_b32_e32 v13, v13, v17, vcc
	ds_bpermute_b32 v19, v18, v14
	ds_bpermute_b32 v17, v18, v13
	v_xor_b32_e32 v20, 8, v5
	v_cmp_gt_i32_e64 s[2:3], s16, v21
	v_xor_b32_e32 v21, 16, v5
	s_waitcnt lgkmcnt(1)
	v_mov_b32_e32 v18, v19
	s_waitcnt lgkmcnt(0)
	v_cmp_lt_f64_e32 vcc, v[13:14], v[17:18]
	v_and_or_b32 v18, v20, 63, v3
	v_lshlrev_b32_e32 v18, 2, v18
	s_and_b64 vcc, s[2:3], vcc
	v_cndmask_b32_e32 v14, v14, v19, vcc
	v_cndmask_b32_e32 v13, v13, v17, vcc
	ds_bpermute_b32 v19, v18, v14
	ds_bpermute_b32 v17, v18, v13
	v_cmp_gt_i32_e64 s[2:3], s16, v20
	v_xor_b32_e32 v20, 32, v5
	s_waitcnt lgkmcnt(1)
	v_mov_b32_e32 v18, v19
	s_waitcnt lgkmcnt(0)
	v_cmp_lt_f64_e32 vcc, v[13:14], v[17:18]
	v_and_or_b32 v18, v21, 63, v3
	v_lshlrev_b32_e32 v18, 2, v18
	v_and_or_b32 v3, v20, 63, v3
	v_lshlrev_b32_e32 v3, 2, v3
	s_and_b64 vcc, s[2:3], vcc
	v_cndmask_b32_e32 v14, v14, v19, vcc
	v_cndmask_b32_e32 v13, v13, v17, vcc
	ds_bpermute_b32 v19, v18, v14
	ds_bpermute_b32 v17, v18, v13
	v_cmp_gt_i32_e64 s[2:3], s16, v21
	s_waitcnt lgkmcnt(1)
	v_mov_b32_e32 v18, v19
	s_waitcnt lgkmcnt(0)
	v_cmp_lt_f64_e32 vcc, v[13:14], v[17:18]
	s_and_b64 vcc, s[2:3], vcc
	v_cndmask_b32_e32 v14, v14, v19, vcc
	v_cndmask_b32_e32 v13, v13, v17, vcc
	ds_bpermute_b32 v19, v3, v14
	ds_bpermute_b32 v17, v3, v13
	v_cmp_gt_i32_e64 s[2:3], s16, v20
	s_waitcnt lgkmcnt(1)
	v_mov_b32_e32 v18, v19
	s_waitcnt lgkmcnt(0)
	v_cmp_lt_f64_e32 vcc, v[13:14], v[17:18]
	s_and_b64 vcc, s[2:3], vcc
	v_cndmask_b32_e32 v14, v14, v19, vcc
	v_cndmask_b32_e32 v13, v13, v17, vcc
	s_cbranch_execnz .LBB1_58
.LBB1_57:
	v_and_b32_e32 v3, 64, v16
	v_add_u32_e32 v3, 64, v3
	v_xor_b32_e32 v13, 1, v16
	v_cmp_lt_i32_e32 vcc, v13, v3
	v_cndmask_b32_e32 v13, v16, v13, vcc
	v_lshlrev_b32_e32 v13, 2, v13
	ds_bpermute_b32 v17, v13, v12
	ds_bpermute_b32 v13, v13, v11
	s_waitcnt lgkmcnt(1)
	v_mov_b32_e32 v14, v17
	s_waitcnt lgkmcnt(0)
	v_cmp_lt_f64_e32 vcc, v[11:12], v[13:14]
	v_xor_b32_e32 v14, 2, v16
	v_cmp_lt_i32_e64 s[2:3], v14, v3
	v_cndmask_b32_e64 v14, v16, v14, s[2:3]
	v_lshlrev_b32_e32 v14, 2, v14
	v_cndmask_b32_e32 v12, v12, v17, vcc
	ds_bpermute_b32 v17, v14, v12
	v_cndmask_b32_e32 v11, v11, v13, vcc
	ds_bpermute_b32 v13, v14, v11
	s_waitcnt lgkmcnt(1)
	v_mov_b32_e32 v14, v17
	s_waitcnt lgkmcnt(0)
	v_cmp_lt_f64_e32 vcc, v[11:12], v[13:14]
	v_xor_b32_e32 v14, 4, v16
	v_cmp_lt_i32_e64 s[2:3], v14, v3
	v_cndmask_b32_e64 v14, v16, v14, s[2:3]
	v_lshlrev_b32_e32 v14, 2, v14
	v_cndmask_b32_e32 v12, v12, v17, vcc
	ds_bpermute_b32 v17, v14, v12
	v_cndmask_b32_e32 v11, v11, v13, vcc
	;; [unrolled: 12-line block ×4, first 2 shown]
	ds_bpermute_b32 v13, v14, v11
	s_waitcnt lgkmcnt(1)
	v_mov_b32_e32 v14, v17
	s_waitcnt lgkmcnt(0)
	v_cmp_lt_f64_e32 vcc, v[11:12], v[13:14]
	v_xor_b32_e32 v14, 32, v16
	v_cmp_lt_i32_e64 s[2:3], v14, v3
	v_cndmask_b32_e64 v3, v16, v14, s[2:3]
	v_lshlrev_b32_e32 v3, 2, v3
	v_cndmask_b32_e32 v12, v12, v17, vcc
	v_cndmask_b32_e32 v11, v11, v13, vcc
	ds_bpermute_b32 v17, v3, v12
	ds_bpermute_b32 v13, v3, v11
	s_waitcnt lgkmcnt(1)
	v_mov_b32_e32 v14, v17
	s_waitcnt lgkmcnt(0)
	v_cmp_lt_f64_e32 vcc, v[11:12], v[13:14]
	v_cndmask_b32_e32 v14, v12, v17, vcc
	v_cndmask_b32_e32 v13, v11, v13, vcc
.LBB1_58:
	s_cmpk_lt_i32 s16, 0x41
	s_cbranch_scc1 .LBB1_66
; %bb.59:
	v_lshrrev_b32_e32 v3, 26, v4
	v_add_u32_e32 v11, v5, v3
	v_and_b32_e32 v3, 0xffffffc0, v11
	v_sub_u32_e32 v3, v5, v3
	v_cmp_eq_u32_e32 vcc, 0, v3
	s_and_saveexec_b64 s[2:3], vcc
; %bb.60:
	v_ashrrev_i32_e32 v11, 6, v11
	v_lshlrev_b32_e32 v11, 3, v11
	ds_write_b64 v11, v[13:14]
; %bb.61:
	s_or_b64 exec, exec, s[2:3]
	v_add_co_u32_e32 v11, vcc, 63, v5
	v_addc_co_u32_e32 v12, vcc, 0, v4, vcc
	s_mov_b64 s[2:3], 0x7f
	v_cmp_gt_u64_e32 vcc, s[2:3], v[11:12]
	s_waitcnt lgkmcnt(0)
	s_barrier
	s_and_saveexec_b64 s[18:19], vcc
	s_cbranch_execz .LBB1_65
; %bb.62:
	v_ashrrev_i32_e32 v4, 31, v3
	v_lshlrev_b64 v[4:5], 6, v[3:4]
	v_cmp_gt_i64_e32 vcc, s[16:17], v[4:5]
	v_mov_b32_e32 v4, s28
	v_mov_b32_e32 v5, s29
	s_and_saveexec_b64 s[2:3], vcc
; %bb.63:
	v_lshlrev_b32_e32 v3, 3, v3
	ds_read_b64 v[4:5], v3
; %bb.64:
	s_or_b64 exec, exec, s[2:3]
	v_and_b32_e32 v3, 64, v16
	v_add_u32_e32 v3, 64, v3
	v_xor_b32_e32 v11, 1, v16
	v_cmp_lt_i32_e32 vcc, v11, v3
	v_cndmask_b32_e32 v11, v16, v11, vcc
	v_lshlrev_b32_e32 v11, 2, v11
	s_waitcnt lgkmcnt(0)
	ds_bpermute_b32 v13, v11, v5
	ds_bpermute_b32 v11, v11, v4
	s_waitcnt lgkmcnt(1)
	v_mov_b32_e32 v12, v13
	s_waitcnt lgkmcnt(0)
	v_cmp_lt_f64_e32 vcc, v[4:5], v[11:12]
	v_xor_b32_e32 v12, 2, v16
	v_cmp_lt_i32_e64 s[2:3], v12, v3
	v_cndmask_b32_e64 v12, v16, v12, s[2:3]
	v_lshlrev_b32_e32 v12, 2, v12
	v_cndmask_b32_e32 v5, v5, v13, vcc
	ds_bpermute_b32 v13, v12, v5
	v_cndmask_b32_e32 v4, v4, v11, vcc
	ds_bpermute_b32 v11, v12, v4
	s_waitcnt lgkmcnt(1)
	v_mov_b32_e32 v12, v13
	s_waitcnt lgkmcnt(0)
	v_cmp_lt_f64_e32 vcc, v[4:5], v[11:12]
	v_xor_b32_e32 v12, 4, v16
	v_cmp_lt_i32_e64 s[2:3], v12, v3
	v_cndmask_b32_e64 v12, v16, v12, s[2:3]
	v_lshlrev_b32_e32 v12, 2, v12
	v_cndmask_b32_e32 v5, v5, v13, vcc
	ds_bpermute_b32 v13, v12, v5
	v_cndmask_b32_e32 v4, v4, v11, vcc
	ds_bpermute_b32 v11, v12, v4
	s_waitcnt lgkmcnt(1)
	v_mov_b32_e32 v12, v13
	s_waitcnt lgkmcnt(0)
	v_cmp_lt_f64_e32 vcc, v[4:5], v[11:12]
	v_xor_b32_e32 v12, 8, v16
	v_cmp_lt_i32_e64 s[2:3], v12, v3
	v_cndmask_b32_e64 v3, v16, v12, s[2:3]
	v_lshlrev_b32_e32 v3, 2, v3
	v_cndmask_b32_e32 v5, v5, v13, vcc
	v_cndmask_b32_e32 v4, v4, v11, vcc
	ds_bpermute_b32 v13, v3, v5
	ds_bpermute_b32 v11, v3, v4
	s_waitcnt lgkmcnt(1)
	v_mov_b32_e32 v12, v13
	s_waitcnt lgkmcnt(0)
	v_cmp_lt_f64_e32 vcc, v[4:5], v[11:12]
	v_cndmask_b32_e32 v14, v5, v13, vcc
	v_cndmask_b32_e32 v13, v4, v11, vcc
.LBB1_65:
	s_or_b64 exec, exec, s[18:19]
	s_barrier
.LBB1_66:
	v_cmp_neq_f64_e32 vcc, s[28:29], v[13:14]
	v_sub_u32_e32 v3, 0, v15
	v_cmp_eq_u32_e64 s[2:3], v6, v3
	s_and_b64 s[2:3], s[2:3], vcc
	s_and_saveexec_b64 s[16:17], s[2:3]
	s_cbranch_execz .LBB1_70
; %bb.67:
	s_mul_i32 s1, s11, s8
	s_add_i32 s1, s1, s0
	s_mul_i32 s1, s1, s10
	s_add_i32 s1, s1, s6
	s_ashr_i32 s2, s1, 31
	s_lshr_b32 s2, s2, 27
	s_add_i32 s2, s1, s2
	s_and_b32 s2, s2, 0x1fffffe0
	s_sub_i32 s1, s1, s2
	s_lshl_b32 s2, s1, 3
	s_ashr_i32 s3, s2, 31
	s_lshl_b64 s[2:3], s[2:3], 3
	s_add_u32 s2, s22, s2
	s_addc_u32 s3, s23, s3
	v_mov_b32_e32 v4, s3
	v_mov_b32_e32 v3, s2
	flat_load_dwordx2 v[5:6], v[3:4] glc
	s_waitcnt vmcnt(0) lgkmcnt(0)
	v_cmp_nle_f64_e32 vcc, v[13:14], v[5:6]
	s_and_b64 exec, exec, vcc
	s_cbranch_execz .LBB1_70
; %bb.68:
	v_mov_b32_e32 v12, s3
	s_mov_b64 s[10:11], 0
	v_mov_b32_e32 v11, s2
.LBB1_69:                               ; =>This Inner Loop Header: Depth=1
	v_cmp_lt_f64_e32 vcc, v[5:6], v[13:14]
	v_cndmask_b32_e32 v4, v6, v14, vcc
	v_cndmask_b32_e32 v3, v5, v13, vcc
	flat_atomic_cmpswap_x2 v[3:4], v[11:12], v[3:6] glc
	s_waitcnt vmcnt(0) lgkmcnt(0)
	v_cmp_le_f64_e32 vcc, v[13:14], v[3:4]
	v_cmp_eq_u64_e64 s[2:3], v[3:4], v[5:6]
	v_mov_b32_e32 v6, v4
	v_mov_b32_e32 v5, v3
	s_or_b64 s[2:3], s[2:3], vcc
	s_and_b64 s[2:3], exec, s[2:3]
	s_or_b64 s[10:11], s[2:3], s[10:11]
	s_andn2_b64 exec, exec, s[10:11]
	s_cbranch_execnz .LBB1_69
.LBB1_70:
	s_or_b64 exec, exec, s[16:17]
	s_load_dwordx4 s[16:19], s[4:5], 0x0
	s_cmp_lg_u64 s[12:13], 0
	s_cbranch_scc1 .LBB1_6
.LBB1_71:
	s_load_dwordx2 s[10:11], s[4:5], 0x118
	s_add_u32 s1, s4, 0x118
	v_mov_b32_e32 v3, 0
	s_addc_u32 s3, s5, 0
	global_load_dword v4, v3, s[4:5] offset:294
	s_waitcnt lgkmcnt(0)
	s_cmp_lt_u32 s6, s10
	s_cselect_b32 s2, 12, 18
	s_add_u32 s2, s1, s2
	s_addc_u32 s3, s3, 0
	global_load_ushort v3, v3, s[2:3]
	v_mbcnt_lo_u32_b32 v11, -1, 0
	v_mbcnt_hi_u32_b32 v14, -1, v11
	s_waitcnt vmcnt(1)
	v_readfirstlane_b32 s1, v4
	s_lshr_b32 s2, s1, 16
	s_and_b32 s1, s1, 0xffff
	s_waitcnt vmcnt(0)
	v_readfirstlane_b32 s3, v3
	s_mul_i32 s1, s1, s3
	v_mul_lo_u32 v13, s1, v2
	v_mad_u32_u24 v6, v1, v3, v0
	s_mul_i32 s12, s1, s2
	s_ashr_i32 s13, s12, 31
	s_and_b32 s1, s12, 63
	v_add_u32_e32 v5, v13, v6
	s_cmp_eq_u32 s1, 0
	v_ashrrev_i32_e32 v4, 31, v5
	s_cbranch_scc1 .LBB1_106
; %bb.72:
	v_and_b32_e32 v3, 64, v14
	v_xor_b32_e32 v15, 1, v5
	v_and_or_b32 v11, v15, 63, v3
	v_lshlrev_b32_e32 v11, 2, v11
	ds_bpermute_b32 v16, v11, v10
	ds_bpermute_b32 v11, v11, v9
	v_xor_b32_e32 v17, 2, v5
	v_cmp_gt_i32_e64 s[2:3], s12, v15
	v_xor_b32_e32 v19, 4, v5
	s_waitcnt lgkmcnt(1)
	v_mov_b32_e32 v12, v16
	s_waitcnt lgkmcnt(0)
	v_cmp_gt_f64_e32 vcc, v[9:10], v[11:12]
	v_and_or_b32 v12, v17, 63, v3
	v_lshlrev_b32_e32 v15, 2, v12
	s_and_b64 vcc, s[2:3], vcc
	v_cndmask_b32_e32 v12, v10, v16, vcc
	v_cndmask_b32_e32 v11, v9, v11, vcc
	ds_bpermute_b32 v18, v15, v12
	ds_bpermute_b32 v15, v15, v11
	v_cmp_gt_i32_e64 s[2:3], s12, v17
	s_waitcnt lgkmcnt(1)
	v_mov_b32_e32 v16, v18
	s_waitcnt lgkmcnt(0)
	v_cmp_gt_f64_e32 vcc, v[11:12], v[15:16]
	v_and_or_b32 v16, v19, 63, v3
	v_lshlrev_b32_e32 v16, 2, v16
	s_and_b64 vcc, s[2:3], vcc
	v_cndmask_b32_e32 v12, v12, v18, vcc
	v_cndmask_b32_e32 v11, v11, v15, vcc
	ds_bpermute_b32 v17, v16, v12
	ds_bpermute_b32 v15, v16, v11
	v_xor_b32_e32 v18, 8, v5
	v_cmp_gt_i32_e64 s[2:3], s12, v19
	v_xor_b32_e32 v19, 16, v5
	s_waitcnt lgkmcnt(1)
	v_mov_b32_e32 v16, v17
	s_waitcnt lgkmcnt(0)
	v_cmp_gt_f64_e32 vcc, v[11:12], v[15:16]
	v_and_or_b32 v16, v18, 63, v3
	v_lshlrev_b32_e32 v16, 2, v16
	s_and_b64 vcc, s[2:3], vcc
	v_cndmask_b32_e32 v12, v12, v17, vcc
	v_cndmask_b32_e32 v11, v11, v15, vcc
	ds_bpermute_b32 v17, v16, v12
	ds_bpermute_b32 v15, v16, v11
	v_cmp_gt_i32_e64 s[2:3], s12, v18
	v_xor_b32_e32 v18, 32, v5
	s_waitcnt lgkmcnt(1)
	v_mov_b32_e32 v16, v17
	s_waitcnt lgkmcnt(0)
	v_cmp_gt_f64_e32 vcc, v[11:12], v[15:16]
	v_and_or_b32 v16, v19, 63, v3
	v_lshlrev_b32_e32 v16, 2, v16
	v_and_or_b32 v3, v18, 63, v3
	v_lshlrev_b32_e32 v3, 2, v3
	s_and_b64 vcc, s[2:3], vcc
	v_cndmask_b32_e32 v12, v12, v17, vcc
	v_cndmask_b32_e32 v11, v11, v15, vcc
	ds_bpermute_b32 v17, v16, v12
	ds_bpermute_b32 v15, v16, v11
	v_cmp_gt_i32_e64 s[2:3], s12, v19
	s_waitcnt lgkmcnt(1)
	v_mov_b32_e32 v16, v17
	s_waitcnt lgkmcnt(0)
	v_cmp_gt_f64_e32 vcc, v[11:12], v[15:16]
	s_and_b64 vcc, s[2:3], vcc
	v_cndmask_b32_e32 v12, v12, v17, vcc
	v_cndmask_b32_e32 v11, v11, v15, vcc
	ds_bpermute_b32 v17, v3, v12
	ds_bpermute_b32 v15, v3, v11
	v_cmp_gt_i32_e64 s[2:3], s12, v18
	s_waitcnt lgkmcnt(1)
	v_mov_b32_e32 v16, v17
	s_waitcnt lgkmcnt(0)
	v_cmp_gt_f64_e32 vcc, v[11:12], v[15:16]
	s_and_b64 vcc, s[2:3], vcc
	v_cndmask_b32_e32 v12, v12, v17, vcc
	v_cndmask_b32_e32 v11, v11, v15, vcc
	s_cbranch_execnz .LBB1_74
.LBB1_73:
	v_and_b32_e32 v3, 64, v14
	v_add_u32_e32 v3, 64, v3
	v_xor_b32_e32 v11, 1, v14
	v_cmp_lt_i32_e32 vcc, v11, v3
	v_cndmask_b32_e32 v11, v14, v11, vcc
	v_lshlrev_b32_e32 v11, 2, v11
	ds_bpermute_b32 v15, v11, v10
	ds_bpermute_b32 v11, v11, v9
	s_waitcnt lgkmcnt(1)
	v_mov_b32_e32 v12, v15
	s_waitcnt lgkmcnt(0)
	v_cmp_gt_f64_e32 vcc, v[9:10], v[11:12]
	v_xor_b32_e32 v12, 2, v14
	v_cmp_lt_i32_e64 s[2:3], v12, v3
	v_cndmask_b32_e64 v12, v14, v12, s[2:3]
	v_lshlrev_b32_e32 v12, 2, v12
	v_cndmask_b32_e32 v10, v10, v15, vcc
	ds_bpermute_b32 v15, v12, v10
	v_cndmask_b32_e32 v9, v9, v11, vcc
	ds_bpermute_b32 v11, v12, v9
	s_waitcnt lgkmcnt(1)
	v_mov_b32_e32 v12, v15
	s_waitcnt lgkmcnt(0)
	v_cmp_gt_f64_e32 vcc, v[9:10], v[11:12]
	v_xor_b32_e32 v12, 4, v14
	v_cmp_lt_i32_e64 s[2:3], v12, v3
	v_cndmask_b32_e64 v12, v14, v12, s[2:3]
	v_lshlrev_b32_e32 v12, 2, v12
	v_cndmask_b32_e32 v10, v10, v15, vcc
	ds_bpermute_b32 v15, v12, v10
	v_cndmask_b32_e32 v9, v9, v11, vcc
	;; [unrolled: 12-line block ×4, first 2 shown]
	ds_bpermute_b32 v11, v12, v9
	s_waitcnt lgkmcnt(1)
	v_mov_b32_e32 v12, v15
	s_waitcnt lgkmcnt(0)
	v_cmp_gt_f64_e32 vcc, v[9:10], v[11:12]
	v_xor_b32_e32 v12, 32, v14
	v_cmp_lt_i32_e64 s[2:3], v12, v3
	v_cndmask_b32_e64 v3, v14, v12, s[2:3]
	v_lshlrev_b32_e32 v3, 2, v3
	v_cndmask_b32_e32 v10, v10, v15, vcc
	v_cndmask_b32_e32 v9, v9, v11, vcc
	ds_bpermute_b32 v15, v3, v10
	ds_bpermute_b32 v11, v3, v9
	s_waitcnt lgkmcnt(1)
	v_mov_b32_e32 v12, v15
	s_waitcnt lgkmcnt(0)
	v_cmp_gt_f64_e32 vcc, v[9:10], v[11:12]
	v_cndmask_b32_e32 v12, v10, v15, vcc
	v_cndmask_b32_e32 v11, v9, v11, vcc
.LBB1_74:
	s_cmpk_lt_i32 s12, 0x41
	s_cbranch_scc1 .LBB1_82
; %bb.75:
	v_lshrrev_b32_e32 v3, 26, v4
	v_add_u32_e32 v9, v5, v3
	v_and_b32_e32 v3, 0xffffffc0, v9
	v_sub_u32_e32 v3, v5, v3
	v_cmp_eq_u32_e32 vcc, 0, v3
	s_and_saveexec_b64 s[2:3], vcc
; %bb.76:
	v_ashrrev_i32_e32 v9, 6, v9
	v_lshlrev_b32_e32 v9, 3, v9
	ds_write_b64 v9, v[11:12] offset:128
; %bb.77:
	s_or_b64 exec, exec, s[2:3]
	v_add_co_u32_e32 v9, vcc, 63, v5
	v_addc_co_u32_e32 v10, vcc, 0, v4, vcc
	s_mov_b64 s[2:3], 0x7f
	v_cmp_gt_u64_e32 vcc, s[2:3], v[9:10]
	s_waitcnt lgkmcnt(0)
	s_barrier
	s_and_saveexec_b64 s[20:21], vcc
	s_cbranch_execz .LBB1_81
; %bb.78:
	v_ashrrev_i32_e32 v4, 31, v3
	v_lshlrev_b64 v[4:5], 6, v[3:4]
	v_cmp_gt_i64_e32 vcc, s[12:13], v[4:5]
	v_mov_b32_e32 v4, s26
	v_mov_b32_e32 v5, s27
	s_and_saveexec_b64 s[2:3], vcc
; %bb.79:
	v_lshlrev_b32_e32 v3, 3, v3
	ds_read_b64 v[4:5], v3 offset:128
; %bb.80:
	s_or_b64 exec, exec, s[2:3]
	v_and_b32_e32 v3, 64, v14
	v_add_u32_e32 v3, 64, v3
	v_xor_b32_e32 v9, 1, v14
	v_cmp_lt_i32_e32 vcc, v9, v3
	v_cndmask_b32_e32 v9, v14, v9, vcc
	v_lshlrev_b32_e32 v9, 2, v9
	s_waitcnt lgkmcnt(0)
	ds_bpermute_b32 v11, v9, v5
	ds_bpermute_b32 v9, v9, v4
	s_waitcnt lgkmcnt(1)
	v_mov_b32_e32 v10, v11
	s_waitcnt lgkmcnt(0)
	v_cmp_gt_f64_e32 vcc, v[4:5], v[9:10]
	v_xor_b32_e32 v10, 2, v14
	v_cmp_lt_i32_e64 s[2:3], v10, v3
	v_cndmask_b32_e64 v10, v14, v10, s[2:3]
	v_lshlrev_b32_e32 v10, 2, v10
	v_cndmask_b32_e32 v5, v5, v11, vcc
	ds_bpermute_b32 v11, v10, v5
	v_cndmask_b32_e32 v4, v4, v9, vcc
	ds_bpermute_b32 v9, v10, v4
	s_waitcnt lgkmcnt(1)
	v_mov_b32_e32 v10, v11
	s_waitcnt lgkmcnt(0)
	v_cmp_gt_f64_e32 vcc, v[4:5], v[9:10]
	v_xor_b32_e32 v10, 4, v14
	v_cmp_lt_i32_e64 s[2:3], v10, v3
	v_cndmask_b32_e64 v10, v14, v10, s[2:3]
	v_lshlrev_b32_e32 v10, 2, v10
	v_cndmask_b32_e32 v5, v5, v11, vcc
	ds_bpermute_b32 v11, v10, v5
	v_cndmask_b32_e32 v4, v4, v9, vcc
	ds_bpermute_b32 v9, v10, v4
	s_waitcnt lgkmcnt(1)
	v_mov_b32_e32 v10, v11
	s_waitcnt lgkmcnt(0)
	v_cmp_gt_f64_e32 vcc, v[4:5], v[9:10]
	v_xor_b32_e32 v10, 8, v14
	v_cmp_lt_i32_e64 s[2:3], v10, v3
	v_cndmask_b32_e64 v3, v14, v10, s[2:3]
	v_lshlrev_b32_e32 v3, 2, v3
	v_cndmask_b32_e32 v5, v5, v11, vcc
	v_cndmask_b32_e32 v4, v4, v9, vcc
	ds_bpermute_b32 v11, v3, v5
	ds_bpermute_b32 v9, v3, v4
	s_waitcnt lgkmcnt(1)
	v_mov_b32_e32 v10, v11
	s_waitcnt lgkmcnt(0)
	v_cmp_gt_f64_e32 vcc, v[4:5], v[9:10]
	v_cndmask_b32_e32 v12, v5, v11, vcc
	v_cndmask_b32_e32 v11, v4, v9, vcc
.LBB1_81:
	s_or_b64 exec, exec, s[20:21]
	s_barrier
.LBB1_82:
	v_cmp_neq_f64_e32 vcc, s[26:27], v[11:12]
	v_sub_u32_e32 v3, 0, v13
	v_cmp_eq_u32_e64 s[2:3], v6, v3
	s_and_b64 s[2:3], s[2:3], vcc
	s_and_saveexec_b64 s[12:13], s[2:3]
	s_cbranch_execz .LBB1_86
; %bb.83:
	s_mul_i32 s1, s11, s8
	s_add_i32 s1, s1, s0
	s_mul_i32 s1, s1, s10
	s_add_i32 s1, s1, s6
	s_ashr_i32 s2, s1, 31
	s_lshr_b32 s2, s2, 27
	s_add_i32 s2, s1, s2
	s_and_b32 s2, s2, 0x1fffffe0
	s_sub_i32 s1, s1, s2
	s_lshl_b32 s2, s1, 3
	s_ashr_i32 s3, s2, 31
	s_lshl_b64 s[2:3], s[2:3], 3
	s_add_u32 s2, s14, s2
	s_addc_u32 s3, s15, s3
	v_mov_b32_e32 v4, s3
	v_mov_b32_e32 v3, s2
	flat_load_dwordx2 v[5:6], v[3:4] glc
	s_waitcnt vmcnt(0) lgkmcnt(0)
	v_cmp_nge_f64_e32 vcc, v[11:12], v[5:6]
	s_and_b64 exec, exec, vcc
	s_cbranch_execz .LBB1_86
; %bb.84:
	v_mov_b32_e32 v10, s3
	s_mov_b64 s[10:11], 0
	v_mov_b32_e32 v9, s2
.LBB1_85:                               ; =>This Inner Loop Header: Depth=1
	v_cmp_lt_f64_e32 vcc, v[11:12], v[5:6]
	v_cndmask_b32_e32 v4, v6, v12, vcc
	v_cndmask_b32_e32 v3, v5, v11, vcc
	flat_atomic_cmpswap_x2 v[3:4], v[9:10], v[3:6] glc
	s_waitcnt vmcnt(0) lgkmcnt(0)
	v_cmp_ge_f64_e32 vcc, v[11:12], v[3:4]
	v_cmp_eq_u64_e64 s[2:3], v[3:4], v[5:6]
	v_mov_b32_e32 v6, v4
	v_mov_b32_e32 v5, v3
	s_or_b64 s[2:3], s[2:3], vcc
	s_and_b64 s[2:3], exec, s[2:3]
	s_or_b64 s[10:11], s[2:3], s[10:11]
	s_andn2_b64 exec, exec, s[10:11]
	s_cbranch_execnz .LBB1_85
.LBB1_86:
	s_or_b64 exec, exec, s[12:13]
	s_cmp_lg_u64 s[16:17], 0
	s_cbranch_scc1 .LBB1_101
.LBB1_87:
	s_load_dwordx2 s[10:11], s[4:5], 0x118
	s_add_u32 s1, s4, 0x118
	v_mov_b32_e32 v3, 0
	s_addc_u32 s3, s5, 0
	global_load_dword v4, v3, s[4:5] offset:294
	s_waitcnt lgkmcnt(0)
	s_cmp_lt_u32 s6, s10
	s_cselect_b32 s2, 12, 18
	s_add_u32 s2, s1, s2
	s_addc_u32 s3, s3, 0
	global_load_ushort v5, v3, s[2:3]
	v_mbcnt_lo_u32_b32 v9, -1, 0
	v_mbcnt_hi_u32_b32 v9, -1, v9
	s_waitcnt vmcnt(1)
	v_readfirstlane_b32 s1, v4
	s_lshr_b32 s2, s1, 16
	s_and_b32 s1, s1, 0xffff
	s_waitcnt vmcnt(0)
	v_readfirstlane_b32 s3, v5
	s_mul_i32 s1, s1, s3
	v_mul_lo_u32 v6, s1, v2
	v_mad_u32_u24 v3, v1, v5, v0
	s_mul_i32 s2, s1, s2
	s_ashr_i32 s3, s2, 31
	s_and_b32 s1, s2, 63
	v_add_u32_e32 v2, v6, v3
	s_cmp_eq_u32 s1, 0
	v_ashrrev_i32_e32 v1, 31, v2
	s_cbranch_scc1 .LBB1_107
; %bb.88:
	v_and_b32_e32 v0, 64, v9
	v_xor_b32_e32 v10, 1, v2
	v_and_or_b32 v4, v10, 63, v0
	v_lshlrev_b32_e32 v5, 2, v4
	ds_bpermute_b32 v4, v5, v7
	ds_bpermute_b32 v5, v5, v8
	v_xor_b32_e32 v12, 2, v2
	v_and_or_b32 v11, v12, 63, v0
	v_cmp_gt_i32_e32 vcc, s2, v10
	v_lshlrev_b32_e32 v11, 2, v11
	s_waitcnt lgkmcnt(0)
	v_add_f64 v[4:5], v[7:8], v[4:5]
	v_xor_b32_e32 v13, 4, v2
	v_and_or_b32 v14, v13, 63, v0
	v_lshlrev_b32_e32 v14, 2, v14
	v_cndmask_b32_e32 v5, v8, v5, vcc
	v_cndmask_b32_e32 v4, v7, v4, vcc
	ds_bpermute_b32 v10, v11, v4
	ds_bpermute_b32 v11, v11, v5
	v_cmp_gt_i32_e32 vcc, s2, v12
	v_xor_b32_e32 v12, 8, v2
	s_waitcnt lgkmcnt(0)
	v_add_f64 v[10:11], v[4:5], v[10:11]
	v_cndmask_b32_e32 v5, v5, v11, vcc
	v_cndmask_b32_e32 v4, v4, v10, vcc
	ds_bpermute_b32 v10, v14, v4
	ds_bpermute_b32 v11, v14, v5
	v_and_or_b32 v14, v12, 63, v0
	v_cmp_gt_i32_e32 vcc, s2, v13
	v_lshlrev_b32_e32 v14, 2, v14
	v_xor_b32_e32 v13, 16, v2
	s_waitcnt lgkmcnt(0)
	v_add_f64 v[10:11], v[4:5], v[10:11]
	v_cndmask_b32_e32 v5, v5, v11, vcc
	v_cndmask_b32_e32 v4, v4, v10, vcc
	ds_bpermute_b32 v10, v14, v4
	ds_bpermute_b32 v11, v14, v5
	v_and_or_b32 v14, v13, 63, v0
	v_cmp_gt_i32_e32 vcc, s2, v12
	v_lshlrev_b32_e32 v14, 2, v14
	v_xor_b32_e32 v12, 32, v2
	s_waitcnt lgkmcnt(0)
	v_add_f64 v[10:11], v[4:5], v[10:11]
	v_and_or_b32 v0, v12, 63, v0
	v_lshlrev_b32_e32 v0, 2, v0
	v_cndmask_b32_e32 v5, v5, v11, vcc
	v_cndmask_b32_e32 v4, v4, v10, vcc
	ds_bpermute_b32 v10, v14, v4
	ds_bpermute_b32 v11, v14, v5
	v_cmp_gt_i32_e32 vcc, s2, v13
	s_waitcnt lgkmcnt(0)
	v_add_f64 v[10:11], v[4:5], v[10:11]
	v_cndmask_b32_e32 v5, v5, v11, vcc
	v_cndmask_b32_e32 v4, v4, v10, vcc
	ds_bpermute_b32 v10, v0, v4
	ds_bpermute_b32 v11, v0, v5
	v_cmp_gt_i32_e32 vcc, s2, v12
	s_waitcnt lgkmcnt(0)
	v_add_f64 v[10:11], v[4:5], v[10:11]
	v_cndmask_b32_e32 v5, v5, v11, vcc
	v_cndmask_b32_e32 v4, v4, v10, vcc
	s_cbranch_execnz .LBB1_90
.LBB1_89:
	v_and_b32_e32 v0, 64, v9
	v_add_u32_e32 v0, 64, v0
	v_xor_b32_e32 v4, 1, v9
	v_cmp_lt_i32_e32 vcc, v4, v0
	v_cndmask_b32_e32 v4, v9, v4, vcc
	v_lshlrev_b32_e32 v5, 2, v4
	ds_bpermute_b32 v4, v5, v7
	ds_bpermute_b32 v5, v5, v8
	s_waitcnt lgkmcnt(0)
	v_add_f64 v[4:5], v[7:8], v[4:5]
	v_xor_b32_e32 v7, 2, v9
	v_cmp_lt_i32_e32 vcc, v7, v0
	v_cndmask_b32_e32 v7, v9, v7, vcc
	v_lshlrev_b32_e32 v8, 2, v7
	ds_bpermute_b32 v7, v8, v4
	ds_bpermute_b32 v8, v8, v5
	s_waitcnt lgkmcnt(0)
	v_add_f64 v[4:5], v[4:5], v[7:8]
	v_xor_b32_e32 v7, 4, v9
	v_cmp_lt_i32_e32 vcc, v7, v0
	v_cndmask_b32_e32 v7, v9, v7, vcc
	v_lshlrev_b32_e32 v8, 2, v7
	ds_bpermute_b32 v7, v8, v4
	ds_bpermute_b32 v8, v8, v5
	s_waitcnt lgkmcnt(0)
	v_add_f64 v[4:5], v[4:5], v[7:8]
	v_xor_b32_e32 v7, 8, v9
	v_cmp_lt_i32_e32 vcc, v7, v0
	v_cndmask_b32_e32 v7, v9, v7, vcc
	v_lshlrev_b32_e32 v8, 2, v7
	ds_bpermute_b32 v7, v8, v4
	ds_bpermute_b32 v8, v8, v5
	s_waitcnt lgkmcnt(0)
	v_add_f64 v[4:5], v[4:5], v[7:8]
	v_xor_b32_e32 v7, 16, v9
	v_cmp_lt_i32_e32 vcc, v7, v0
	v_cndmask_b32_e32 v7, v9, v7, vcc
	v_lshlrev_b32_e32 v8, 2, v7
	ds_bpermute_b32 v7, v8, v4
	ds_bpermute_b32 v8, v8, v5
	s_waitcnt lgkmcnt(0)
	v_add_f64 v[4:5], v[4:5], v[7:8]
	v_xor_b32_e32 v7, 32, v9
	v_cmp_lt_i32_e32 vcc, v7, v0
	v_cndmask_b32_e32 v0, v9, v7, vcc
	v_lshlrev_b32_e32 v0, 2, v0
	ds_bpermute_b32 v7, v0, v4
	ds_bpermute_b32 v8, v0, v5
	s_waitcnt lgkmcnt(0)
	v_add_f64 v[4:5], v[4:5], v[7:8]
.LBB1_90:
	s_cmpk_lt_i32 s2, 0x41
	s_cbranch_scc1 .LBB1_98
; %bb.91:
	v_lshrrev_b32_e32 v0, 26, v1
	v_add_u32_e32 v7, v2, v0
	v_and_b32_e32 v0, 0xffffffc0, v7
	v_sub_u32_e32 v0, v2, v0
	v_cmp_eq_u32_e32 vcc, 0, v0
	s_and_saveexec_b64 s[4:5], vcc
; %bb.92:
	v_ashrrev_i32_e32 v7, 6, v7
	v_lshlrev_b32_e32 v7, 3, v7
	ds_write_b64 v7, v[4:5] offset:256
; %bb.93:
	s_or_b64 exec, exec, s[4:5]
	v_add_co_u32_e32 v7, vcc, 63, v2
	v_addc_co_u32_e32 v8, vcc, 0, v1, vcc
	s_mov_b64 s[4:5], 0x7f
	v_cmp_gt_u64_e32 vcc, s[4:5], v[7:8]
	s_waitcnt lgkmcnt(0)
	s_barrier
	s_and_saveexec_b64 s[4:5], vcc
	s_cbranch_execz .LBB1_97
; %bb.94:
	v_ashrrev_i32_e32 v1, 31, v0
	v_lshlrev_b64 v[1:2], 6, v[0:1]
	v_cmp_gt_i64_e32 vcc, s[2:3], v[1:2]
	v_mov_b32_e32 v1, s24
	v_mov_b32_e32 v2, s25
	s_and_saveexec_b64 s[2:3], vcc
; %bb.95:
	v_lshlrev_b32_e32 v0, 3, v0
	ds_read_b64 v[1:2], v0 offset:256
; %bb.96:
	s_or_b64 exec, exec, s[2:3]
	v_and_b32_e32 v0, 64, v9
	v_add_u32_e32 v7, 64, v0
	v_xor_b32_e32 v0, 1, v9
	v_cmp_lt_i32_e32 vcc, v0, v7
	v_cndmask_b32_e32 v0, v9, v0, vcc
	v_lshlrev_b32_e32 v0, 2, v0
	s_waitcnt lgkmcnt(0)
	ds_bpermute_b32 v4, v0, v1
	ds_bpermute_b32 v5, v0, v2
	s_waitcnt lgkmcnt(0)
	v_add_f64 v[0:1], v[1:2], v[4:5]
	v_xor_b32_e32 v2, 2, v9
	v_cmp_lt_i32_e32 vcc, v2, v7
	v_cndmask_b32_e32 v2, v9, v2, vcc
	v_lshlrev_b32_e32 v2, 2, v2
	ds_bpermute_b32 v4, v2, v0
	ds_bpermute_b32 v5, v2, v1
	v_xor_b32_e32 v2, 4, v9
	v_cmp_lt_i32_e32 vcc, v2, v7
	v_cndmask_b32_e32 v2, v9, v2, vcc
	v_lshlrev_b32_e32 v2, 2, v2
	s_waitcnt lgkmcnt(0)
	v_add_f64 v[0:1], v[0:1], v[4:5]
	ds_bpermute_b32 v4, v2, v0
	ds_bpermute_b32 v5, v2, v1
	v_xor_b32_e32 v2, 8, v9
	v_cmp_lt_i32_e32 vcc, v2, v7
	v_cndmask_b32_e32 v2, v9, v2, vcc
	v_lshlrev_b32_e32 v2, 2, v2
	s_waitcnt lgkmcnt(0)
	v_add_f64 v[0:1], v[0:1], v[4:5]
	ds_bpermute_b32 v4, v2, v0
	ds_bpermute_b32 v5, v2, v1
	s_waitcnt lgkmcnt(0)
	v_add_f64 v[4:5], v[0:1], v[4:5]
.LBB1_97:
	s_or_b64 exec, exec, s[4:5]
	s_barrier
.LBB1_98:
	v_cmp_neq_f64_e32 vcc, s[24:25], v[4:5]
	v_sub_u32_e32 v0, 0, v6
	v_cmp_eq_u32_e64 s[2:3], v3, v0
	s_and_b64 s[2:3], s[2:3], vcc
	s_and_saveexec_b64 s[4:5], s[2:3]
	s_cbranch_execz .LBB1_101
; %bb.99:
	s_mul_i32 s1, s11, s8
	s_add_i32 s0, s1, s0
	s_mul_i32 s0, s0, s10
	s_add_i32 s0, s0, s6
	s_ashr_i32 s1, s0, 31
	s_lshr_b32 s1, s1, 27
	s_add_i32 s1, s0, s1
	s_and_b32 s1, s1, 0x1fffffe0
	s_sub_i32 s0, s0, s1
	s_lshl_b32 s0, s0, 3
	s_ashr_i32 s1, s0, 31
	s_lshl_b64 s[0:1], s[0:1], 3
	s_add_u32 s0, s18, s0
	s_addc_u32 s1, s19, s1
	v_mov_b32_e32 v7, s1
	v_mov_b32_e32 v6, s0
	flat_load_dwordx2 v[2:3], v[6:7]
	s_mov_b64 s[0:1], 0
.LBB1_100:                              ; =>This Inner Loop Header: Depth=1
	s_waitcnt vmcnt(0) lgkmcnt(0)
	v_add_f64 v[0:1], v[2:3], v[4:5]
	flat_atomic_cmpswap_x2 v[0:1], v[6:7], v[0:3] glc
	s_waitcnt vmcnt(0) lgkmcnt(0)
	v_cmp_eq_u64_e32 vcc, v[0:1], v[2:3]
	v_mov_b32_e32 v3, v1
	s_or_b64 s[0:1], vcc, s[0:1]
	v_mov_b32_e32 v2, v0
	s_andn2_b64 exec, exec, s[0:1]
	s_cbranch_execnz .LBB1_100
.LBB1_101:
	s_endpgm
.LBB1_102:
                                        ; implicit-def: $vgpr17_vgpr18
	s_branch .LBB1_10
.LBB1_103:
                                        ; implicit-def: $vgpr17_vgpr18
	s_branch .LBB1_26
.LBB1_104:
                                        ; implicit-def: $vgpr15_vgpr16
	s_branch .LBB1_42
.LBB1_105:
                                        ; implicit-def: $vgpr13_vgpr14
	s_branch .LBB1_57
.LBB1_106:
                                        ; implicit-def: $vgpr11_vgpr12
	s_branch .LBB1_73
.LBB1_107:
                                        ; implicit-def: $vgpr4_vgpr5
	s_branch .LBB1_89
	.section	.rodata,"a",@progbits
	.p2align	6, 0x0
	.amdhsa_kernel _ZN4RAJA6policy3hip4impl18forallp_hip_kernelINS1_8hip_execINS_17iteration_mapping6DirectENS_3hip11IndexGlobalILNS_9named_dimE0ELi256ELi0EEENS7_40AvoidDeviceMaxThreadOccupancyConcretizerINS7_34FractionOffsetOccupancyConcretizerINS_8FractionImLm1ELm1EEELln1EEEEELb1EEENS_9Iterators16numeric_iteratorIllPlEEZN8rajaperf5basic13REDUCE_STRUCT17runHipVariantRAJAILm256ENSM_13gpu_algorithm19block_atomic_helperENSM_11gpu_mapping20global_direct_helperEEEvNSM_9VariantIDEEUllE_lNS_4expt15ForallParamPackIJEEES6_SA_TnNSt9enable_ifIXaasr3std10is_base_ofINS5_10DirectBaseET4_EE5valuegtsrT5_10block_sizeLi0EEmE4typeELm256EEEvT1_T0_T2_T3_
		.amdhsa_group_segment_fixed_size 384
		.amdhsa_private_segment_fixed_size 0
		.amdhsa_kernarg_size 536
		.amdhsa_user_sgpr_count 6
		.amdhsa_user_sgpr_private_segment_buffer 1
		.amdhsa_user_sgpr_dispatch_ptr 0
		.amdhsa_user_sgpr_queue_ptr 0
		.amdhsa_user_sgpr_kernarg_segment_ptr 1
		.amdhsa_user_sgpr_dispatch_id 0
		.amdhsa_user_sgpr_flat_scratch_init 0
		.amdhsa_user_sgpr_private_segment_size 0
		.amdhsa_uses_dynamic_stack 0
		.amdhsa_system_sgpr_private_segment_wavefront_offset 0
		.amdhsa_system_sgpr_workgroup_id_x 1
		.amdhsa_system_sgpr_workgroup_id_y 1
		.amdhsa_system_sgpr_workgroup_id_z 1
		.amdhsa_system_sgpr_workgroup_info 0
		.amdhsa_system_vgpr_workitem_id 2
		.amdhsa_next_free_vgpr 28
		.amdhsa_next_free_sgpr 36
		.amdhsa_reserve_vcc 1
		.amdhsa_reserve_flat_scratch 0
		.amdhsa_float_round_mode_32 0
		.amdhsa_float_round_mode_16_64 0
		.amdhsa_float_denorm_mode_32 3
		.amdhsa_float_denorm_mode_16_64 3
		.amdhsa_dx10_clamp 1
		.amdhsa_ieee_mode 1
		.amdhsa_fp16_overflow 0
		.amdhsa_exception_fp_ieee_invalid_op 0
		.amdhsa_exception_fp_denorm_src 0
		.amdhsa_exception_fp_ieee_div_zero 0
		.amdhsa_exception_fp_ieee_overflow 0
		.amdhsa_exception_fp_ieee_underflow 0
		.amdhsa_exception_fp_ieee_inexact 0
		.amdhsa_exception_int_div_zero 0
	.end_amdhsa_kernel
	.section	.text._ZN4RAJA6policy3hip4impl18forallp_hip_kernelINS1_8hip_execINS_17iteration_mapping6DirectENS_3hip11IndexGlobalILNS_9named_dimE0ELi256ELi0EEENS7_40AvoidDeviceMaxThreadOccupancyConcretizerINS7_34FractionOffsetOccupancyConcretizerINS_8FractionImLm1ELm1EEELln1EEEEELb1EEENS_9Iterators16numeric_iteratorIllPlEEZN8rajaperf5basic13REDUCE_STRUCT17runHipVariantRAJAILm256ENSM_13gpu_algorithm19block_atomic_helperENSM_11gpu_mapping20global_direct_helperEEEvNSM_9VariantIDEEUllE_lNS_4expt15ForallParamPackIJEEES6_SA_TnNSt9enable_ifIXaasr3std10is_base_ofINS5_10DirectBaseET4_EE5valuegtsrT5_10block_sizeLi0EEmE4typeELm256EEEvT1_T0_T2_T3_,"axG",@progbits,_ZN4RAJA6policy3hip4impl18forallp_hip_kernelINS1_8hip_execINS_17iteration_mapping6DirectENS_3hip11IndexGlobalILNS_9named_dimE0ELi256ELi0EEENS7_40AvoidDeviceMaxThreadOccupancyConcretizerINS7_34FractionOffsetOccupancyConcretizerINS_8FractionImLm1ELm1EEELln1EEEEELb1EEENS_9Iterators16numeric_iteratorIllPlEEZN8rajaperf5basic13REDUCE_STRUCT17runHipVariantRAJAILm256ENSM_13gpu_algorithm19block_atomic_helperENSM_11gpu_mapping20global_direct_helperEEEvNSM_9VariantIDEEUllE_lNS_4expt15ForallParamPackIJEEES6_SA_TnNSt9enable_ifIXaasr3std10is_base_ofINS5_10DirectBaseET4_EE5valuegtsrT5_10block_sizeLi0EEmE4typeELm256EEEvT1_T0_T2_T3_,comdat
.Lfunc_end1:
	.size	_ZN4RAJA6policy3hip4impl18forallp_hip_kernelINS1_8hip_execINS_17iteration_mapping6DirectENS_3hip11IndexGlobalILNS_9named_dimE0ELi256ELi0EEENS7_40AvoidDeviceMaxThreadOccupancyConcretizerINS7_34FractionOffsetOccupancyConcretizerINS_8FractionImLm1ELm1EEELln1EEEEELb1EEENS_9Iterators16numeric_iteratorIllPlEEZN8rajaperf5basic13REDUCE_STRUCT17runHipVariantRAJAILm256ENSM_13gpu_algorithm19block_atomic_helperENSM_11gpu_mapping20global_direct_helperEEEvNSM_9VariantIDEEUllE_lNS_4expt15ForallParamPackIJEEES6_SA_TnNSt9enable_ifIXaasr3std10is_base_ofINS5_10DirectBaseET4_EE5valuegtsrT5_10block_sizeLi0EEmE4typeELm256EEEvT1_T0_T2_T3_, .Lfunc_end1-_ZN4RAJA6policy3hip4impl18forallp_hip_kernelINS1_8hip_execINS_17iteration_mapping6DirectENS_3hip11IndexGlobalILNS_9named_dimE0ELi256ELi0EEENS7_40AvoidDeviceMaxThreadOccupancyConcretizerINS7_34FractionOffsetOccupancyConcretizerINS_8FractionImLm1ELm1EEELln1EEEEELb1EEENS_9Iterators16numeric_iteratorIllPlEEZN8rajaperf5basic13REDUCE_STRUCT17runHipVariantRAJAILm256ENSM_13gpu_algorithm19block_atomic_helperENSM_11gpu_mapping20global_direct_helperEEEvNSM_9VariantIDEEUllE_lNS_4expt15ForallParamPackIJEEES6_SA_TnNSt9enable_ifIXaasr3std10is_base_ofINS5_10DirectBaseET4_EE5valuegtsrT5_10block_sizeLi0EEmE4typeELm256EEEvT1_T0_T2_T3_
                                        ; -- End function
	.set _ZN4RAJA6policy3hip4impl18forallp_hip_kernelINS1_8hip_execINS_17iteration_mapping6DirectENS_3hip11IndexGlobalILNS_9named_dimE0ELi256ELi0EEENS7_40AvoidDeviceMaxThreadOccupancyConcretizerINS7_34FractionOffsetOccupancyConcretizerINS_8FractionImLm1ELm1EEELln1EEEEELb1EEENS_9Iterators16numeric_iteratorIllPlEEZN8rajaperf5basic13REDUCE_STRUCT17runHipVariantRAJAILm256ENSM_13gpu_algorithm19block_atomic_helperENSM_11gpu_mapping20global_direct_helperEEEvNSM_9VariantIDEEUllE_lNS_4expt15ForallParamPackIJEEES6_SA_TnNSt9enable_ifIXaasr3std10is_base_ofINS5_10DirectBaseET4_EE5valuegtsrT5_10block_sizeLi0EEmE4typeELm256EEEvT1_T0_T2_T3_.num_vgpr, 28
	.set _ZN4RAJA6policy3hip4impl18forallp_hip_kernelINS1_8hip_execINS_17iteration_mapping6DirectENS_3hip11IndexGlobalILNS_9named_dimE0ELi256ELi0EEENS7_40AvoidDeviceMaxThreadOccupancyConcretizerINS7_34FractionOffsetOccupancyConcretizerINS_8FractionImLm1ELm1EEELln1EEEEELb1EEENS_9Iterators16numeric_iteratorIllPlEEZN8rajaperf5basic13REDUCE_STRUCT17runHipVariantRAJAILm256ENSM_13gpu_algorithm19block_atomic_helperENSM_11gpu_mapping20global_direct_helperEEEvNSM_9VariantIDEEUllE_lNS_4expt15ForallParamPackIJEEES6_SA_TnNSt9enable_ifIXaasr3std10is_base_ofINS5_10DirectBaseET4_EE5valuegtsrT5_10block_sizeLi0EEmE4typeELm256EEEvT1_T0_T2_T3_.num_agpr, 0
	.set _ZN4RAJA6policy3hip4impl18forallp_hip_kernelINS1_8hip_execINS_17iteration_mapping6DirectENS_3hip11IndexGlobalILNS_9named_dimE0ELi256ELi0EEENS7_40AvoidDeviceMaxThreadOccupancyConcretizerINS7_34FractionOffsetOccupancyConcretizerINS_8FractionImLm1ELm1EEELln1EEEEELb1EEENS_9Iterators16numeric_iteratorIllPlEEZN8rajaperf5basic13REDUCE_STRUCT17runHipVariantRAJAILm256ENSM_13gpu_algorithm19block_atomic_helperENSM_11gpu_mapping20global_direct_helperEEEvNSM_9VariantIDEEUllE_lNS_4expt15ForallParamPackIJEEES6_SA_TnNSt9enable_ifIXaasr3std10is_base_ofINS5_10DirectBaseET4_EE5valuegtsrT5_10block_sizeLi0EEmE4typeELm256EEEvT1_T0_T2_T3_.numbered_sgpr, 36
	.set _ZN4RAJA6policy3hip4impl18forallp_hip_kernelINS1_8hip_execINS_17iteration_mapping6DirectENS_3hip11IndexGlobalILNS_9named_dimE0ELi256ELi0EEENS7_40AvoidDeviceMaxThreadOccupancyConcretizerINS7_34FractionOffsetOccupancyConcretizerINS_8FractionImLm1ELm1EEELln1EEEEELb1EEENS_9Iterators16numeric_iteratorIllPlEEZN8rajaperf5basic13REDUCE_STRUCT17runHipVariantRAJAILm256ENSM_13gpu_algorithm19block_atomic_helperENSM_11gpu_mapping20global_direct_helperEEEvNSM_9VariantIDEEUllE_lNS_4expt15ForallParamPackIJEEES6_SA_TnNSt9enable_ifIXaasr3std10is_base_ofINS5_10DirectBaseET4_EE5valuegtsrT5_10block_sizeLi0EEmE4typeELm256EEEvT1_T0_T2_T3_.num_named_barrier, 0
	.set _ZN4RAJA6policy3hip4impl18forallp_hip_kernelINS1_8hip_execINS_17iteration_mapping6DirectENS_3hip11IndexGlobalILNS_9named_dimE0ELi256ELi0EEENS7_40AvoidDeviceMaxThreadOccupancyConcretizerINS7_34FractionOffsetOccupancyConcretizerINS_8FractionImLm1ELm1EEELln1EEEEELb1EEENS_9Iterators16numeric_iteratorIllPlEEZN8rajaperf5basic13REDUCE_STRUCT17runHipVariantRAJAILm256ENSM_13gpu_algorithm19block_atomic_helperENSM_11gpu_mapping20global_direct_helperEEEvNSM_9VariantIDEEUllE_lNS_4expt15ForallParamPackIJEEES6_SA_TnNSt9enable_ifIXaasr3std10is_base_ofINS5_10DirectBaseET4_EE5valuegtsrT5_10block_sizeLi0EEmE4typeELm256EEEvT1_T0_T2_T3_.private_seg_size, 0
	.set _ZN4RAJA6policy3hip4impl18forallp_hip_kernelINS1_8hip_execINS_17iteration_mapping6DirectENS_3hip11IndexGlobalILNS_9named_dimE0ELi256ELi0EEENS7_40AvoidDeviceMaxThreadOccupancyConcretizerINS7_34FractionOffsetOccupancyConcretizerINS_8FractionImLm1ELm1EEELln1EEEEELb1EEENS_9Iterators16numeric_iteratorIllPlEEZN8rajaperf5basic13REDUCE_STRUCT17runHipVariantRAJAILm256ENSM_13gpu_algorithm19block_atomic_helperENSM_11gpu_mapping20global_direct_helperEEEvNSM_9VariantIDEEUllE_lNS_4expt15ForallParamPackIJEEES6_SA_TnNSt9enable_ifIXaasr3std10is_base_ofINS5_10DirectBaseET4_EE5valuegtsrT5_10block_sizeLi0EEmE4typeELm256EEEvT1_T0_T2_T3_.uses_vcc, 1
	.set _ZN4RAJA6policy3hip4impl18forallp_hip_kernelINS1_8hip_execINS_17iteration_mapping6DirectENS_3hip11IndexGlobalILNS_9named_dimE0ELi256ELi0EEENS7_40AvoidDeviceMaxThreadOccupancyConcretizerINS7_34FractionOffsetOccupancyConcretizerINS_8FractionImLm1ELm1EEELln1EEEEELb1EEENS_9Iterators16numeric_iteratorIllPlEEZN8rajaperf5basic13REDUCE_STRUCT17runHipVariantRAJAILm256ENSM_13gpu_algorithm19block_atomic_helperENSM_11gpu_mapping20global_direct_helperEEEvNSM_9VariantIDEEUllE_lNS_4expt15ForallParamPackIJEEES6_SA_TnNSt9enable_ifIXaasr3std10is_base_ofINS5_10DirectBaseET4_EE5valuegtsrT5_10block_sizeLi0EEmE4typeELm256EEEvT1_T0_T2_T3_.uses_flat_scratch, 0
	.set _ZN4RAJA6policy3hip4impl18forallp_hip_kernelINS1_8hip_execINS_17iteration_mapping6DirectENS_3hip11IndexGlobalILNS_9named_dimE0ELi256ELi0EEENS7_40AvoidDeviceMaxThreadOccupancyConcretizerINS7_34FractionOffsetOccupancyConcretizerINS_8FractionImLm1ELm1EEELln1EEEEELb1EEENS_9Iterators16numeric_iteratorIllPlEEZN8rajaperf5basic13REDUCE_STRUCT17runHipVariantRAJAILm256ENSM_13gpu_algorithm19block_atomic_helperENSM_11gpu_mapping20global_direct_helperEEEvNSM_9VariantIDEEUllE_lNS_4expt15ForallParamPackIJEEES6_SA_TnNSt9enable_ifIXaasr3std10is_base_ofINS5_10DirectBaseET4_EE5valuegtsrT5_10block_sizeLi0EEmE4typeELm256EEEvT1_T0_T2_T3_.has_dyn_sized_stack, 0
	.set _ZN4RAJA6policy3hip4impl18forallp_hip_kernelINS1_8hip_execINS_17iteration_mapping6DirectENS_3hip11IndexGlobalILNS_9named_dimE0ELi256ELi0EEENS7_40AvoidDeviceMaxThreadOccupancyConcretizerINS7_34FractionOffsetOccupancyConcretizerINS_8FractionImLm1ELm1EEELln1EEEEELb1EEENS_9Iterators16numeric_iteratorIllPlEEZN8rajaperf5basic13REDUCE_STRUCT17runHipVariantRAJAILm256ENSM_13gpu_algorithm19block_atomic_helperENSM_11gpu_mapping20global_direct_helperEEEvNSM_9VariantIDEEUllE_lNS_4expt15ForallParamPackIJEEES6_SA_TnNSt9enable_ifIXaasr3std10is_base_ofINS5_10DirectBaseET4_EE5valuegtsrT5_10block_sizeLi0EEmE4typeELm256EEEvT1_T0_T2_T3_.has_recursion, 0
	.set _ZN4RAJA6policy3hip4impl18forallp_hip_kernelINS1_8hip_execINS_17iteration_mapping6DirectENS_3hip11IndexGlobalILNS_9named_dimE0ELi256ELi0EEENS7_40AvoidDeviceMaxThreadOccupancyConcretizerINS7_34FractionOffsetOccupancyConcretizerINS_8FractionImLm1ELm1EEELln1EEEEELb1EEENS_9Iterators16numeric_iteratorIllPlEEZN8rajaperf5basic13REDUCE_STRUCT17runHipVariantRAJAILm256ENSM_13gpu_algorithm19block_atomic_helperENSM_11gpu_mapping20global_direct_helperEEEvNSM_9VariantIDEEUllE_lNS_4expt15ForallParamPackIJEEES6_SA_TnNSt9enable_ifIXaasr3std10is_base_ofINS5_10DirectBaseET4_EE5valuegtsrT5_10block_sizeLi0EEmE4typeELm256EEEvT1_T0_T2_T3_.has_indirect_call, 0
	.section	.AMDGPU.csdata,"",@progbits
; Kernel info:
; codeLenInByte = 9344
; TotalNumSgprs: 40
; NumVgprs: 28
; ScratchSize: 0
; MemoryBound: 0
; FloatMode: 240
; IeeeMode: 1
; LDSByteSize: 384 bytes/workgroup (compile time only)
; SGPRBlocks: 4
; VGPRBlocks: 6
; NumSGPRsForWavesPerEU: 40
; NumVGPRsForWavesPerEU: 28
; Occupancy: 9
; WaveLimiterHint : 1
; COMPUTE_PGM_RSRC2:SCRATCH_EN: 0
; COMPUTE_PGM_RSRC2:USER_SGPR: 6
; COMPUTE_PGM_RSRC2:TRAP_HANDLER: 0
; COMPUTE_PGM_RSRC2:TGID_X_EN: 1
; COMPUTE_PGM_RSRC2:TGID_Y_EN: 1
; COMPUTE_PGM_RSRC2:TGID_Z_EN: 1
; COMPUTE_PGM_RSRC2:TIDIG_COMP_CNT: 2
	.section	.text._ZN4RAJA6policy3hip4impl18forallp_hip_kernelINS1_8hip_execINS_17iteration_mapping6DirectENS_3hip11IndexGlobalILNS_9named_dimE0ELi256ELi0EEENS7_40AvoidDeviceMaxThreadOccupancyConcretizerINS7_34FractionOffsetOccupancyConcretizerINS_8FractionImLm1ELm1EEELln1EEEEELb1EEENS_9Iterators16numeric_iteratorIllPlEEZN8rajaperf5basic13REDUCE_STRUCT17runHipVariantRAJAILm256ENSM_13gpu_algorithm19block_device_helperENSM_11gpu_mapping20global_direct_helperEEEvNSM_9VariantIDEEUllE_lNS_4expt15ForallParamPackIJEEES6_SA_TnNSt9enable_ifIXaasr3std10is_base_ofINS5_10DirectBaseET4_EE5valuegtsrT5_10block_sizeLi0EEmE4typeELm256EEEvT1_T0_T2_T3_,"axG",@progbits,_ZN4RAJA6policy3hip4impl18forallp_hip_kernelINS1_8hip_execINS_17iteration_mapping6DirectENS_3hip11IndexGlobalILNS_9named_dimE0ELi256ELi0EEENS7_40AvoidDeviceMaxThreadOccupancyConcretizerINS7_34FractionOffsetOccupancyConcretizerINS_8FractionImLm1ELm1EEELln1EEEEELb1EEENS_9Iterators16numeric_iteratorIllPlEEZN8rajaperf5basic13REDUCE_STRUCT17runHipVariantRAJAILm256ENSM_13gpu_algorithm19block_device_helperENSM_11gpu_mapping20global_direct_helperEEEvNSM_9VariantIDEEUllE_lNS_4expt15ForallParamPackIJEEES6_SA_TnNSt9enable_ifIXaasr3std10is_base_ofINS5_10DirectBaseET4_EE5valuegtsrT5_10block_sizeLi0EEmE4typeELm256EEEvT1_T0_T2_T3_,comdat
	.protected	_ZN4RAJA6policy3hip4impl18forallp_hip_kernelINS1_8hip_execINS_17iteration_mapping6DirectENS_3hip11IndexGlobalILNS_9named_dimE0ELi256ELi0EEENS7_40AvoidDeviceMaxThreadOccupancyConcretizerINS7_34FractionOffsetOccupancyConcretizerINS_8FractionImLm1ELm1EEELln1EEEEELb1EEENS_9Iterators16numeric_iteratorIllPlEEZN8rajaperf5basic13REDUCE_STRUCT17runHipVariantRAJAILm256ENSM_13gpu_algorithm19block_device_helperENSM_11gpu_mapping20global_direct_helperEEEvNSM_9VariantIDEEUllE_lNS_4expt15ForallParamPackIJEEES6_SA_TnNSt9enable_ifIXaasr3std10is_base_ofINS5_10DirectBaseET4_EE5valuegtsrT5_10block_sizeLi0EEmE4typeELm256EEEvT1_T0_T2_T3_ ; -- Begin function _ZN4RAJA6policy3hip4impl18forallp_hip_kernelINS1_8hip_execINS_17iteration_mapping6DirectENS_3hip11IndexGlobalILNS_9named_dimE0ELi256ELi0EEENS7_40AvoidDeviceMaxThreadOccupancyConcretizerINS7_34FractionOffsetOccupancyConcretizerINS_8FractionImLm1ELm1EEELln1EEEEELb1EEENS_9Iterators16numeric_iteratorIllPlEEZN8rajaperf5basic13REDUCE_STRUCT17runHipVariantRAJAILm256ENSM_13gpu_algorithm19block_device_helperENSM_11gpu_mapping20global_direct_helperEEEvNSM_9VariantIDEEUllE_lNS_4expt15ForallParamPackIJEEES6_SA_TnNSt9enable_ifIXaasr3std10is_base_ofINS5_10DirectBaseET4_EE5valuegtsrT5_10block_sizeLi0EEmE4typeELm256EEEvT1_T0_T2_T3_
	.globl	_ZN4RAJA6policy3hip4impl18forallp_hip_kernelINS1_8hip_execINS_17iteration_mapping6DirectENS_3hip11IndexGlobalILNS_9named_dimE0ELi256ELi0EEENS7_40AvoidDeviceMaxThreadOccupancyConcretizerINS7_34FractionOffsetOccupancyConcretizerINS_8FractionImLm1ELm1EEELln1EEEEELb1EEENS_9Iterators16numeric_iteratorIllPlEEZN8rajaperf5basic13REDUCE_STRUCT17runHipVariantRAJAILm256ENSM_13gpu_algorithm19block_device_helperENSM_11gpu_mapping20global_direct_helperEEEvNSM_9VariantIDEEUllE_lNS_4expt15ForallParamPackIJEEES6_SA_TnNSt9enable_ifIXaasr3std10is_base_ofINS5_10DirectBaseET4_EE5valuegtsrT5_10block_sizeLi0EEmE4typeELm256EEEvT1_T0_T2_T3_
	.p2align	8
	.type	_ZN4RAJA6policy3hip4impl18forallp_hip_kernelINS1_8hip_execINS_17iteration_mapping6DirectENS_3hip11IndexGlobalILNS_9named_dimE0ELi256ELi0EEENS7_40AvoidDeviceMaxThreadOccupancyConcretizerINS7_34FractionOffsetOccupancyConcretizerINS_8FractionImLm1ELm1EEELln1EEEEELb1EEENS_9Iterators16numeric_iteratorIllPlEEZN8rajaperf5basic13REDUCE_STRUCT17runHipVariantRAJAILm256ENSM_13gpu_algorithm19block_device_helperENSM_11gpu_mapping20global_direct_helperEEEvNSM_9VariantIDEEUllE_lNS_4expt15ForallParamPackIJEEES6_SA_TnNSt9enable_ifIXaasr3std10is_base_ofINS5_10DirectBaseET4_EE5valuegtsrT5_10block_sizeLi0EEmE4typeELm256EEEvT1_T0_T2_T3_,@function
_ZN4RAJA6policy3hip4impl18forallp_hip_kernelINS1_8hip_execINS_17iteration_mapping6DirectENS_3hip11IndexGlobalILNS_9named_dimE0ELi256ELi0EEENS7_40AvoidDeviceMaxThreadOccupancyConcretizerINS7_34FractionOffsetOccupancyConcretizerINS_8FractionImLm1ELm1EEELln1EEEEELb1EEENS_9Iterators16numeric_iteratorIllPlEEZN8rajaperf5basic13REDUCE_STRUCT17runHipVariantRAJAILm256ENSM_13gpu_algorithm19block_device_helperENSM_11gpu_mapping20global_direct_helperEEEvNSM_9VariantIDEEUllE_lNS_4expt15ForallParamPackIJEEES6_SA_TnNSt9enable_ifIXaasr3std10is_base_ofINS5_10DirectBaseET4_EE5valuegtsrT5_10block_sizeLi0EEmE4typeELm256EEEvT1_T0_T2_T3_: ; @_ZN4RAJA6policy3hip4impl18forallp_hip_kernelINS1_8hip_execINS_17iteration_mapping6DirectENS_3hip11IndexGlobalILNS_9named_dimE0ELi256ELi0EEENS7_40AvoidDeviceMaxThreadOccupancyConcretizerINS7_34FractionOffsetOccupancyConcretizerINS_8FractionImLm1ELm1EEELln1EEEEELb1EEENS_9Iterators16numeric_iteratorIllPlEEZN8rajaperf5basic13REDUCE_STRUCT17runHipVariantRAJAILm256ENSM_13gpu_algorithm19block_device_helperENSM_11gpu_mapping20global_direct_helperEEEvNSM_9VariantIDEEUllE_lNS_4expt15ForallParamPackIJEEES6_SA_TnNSt9enable_ifIXaasr3std10is_base_ofINS5_10DirectBaseET4_EE5valuegtsrT5_10block_sizeLi0EEmE4typeELm256EEEvT1_T0_T2_T3_
; %bb.0:
	s_load_dwordx4 s[16:19], s[4:5], 0x18
	s_load_dwordx4 s[20:23], s[4:5], 0x58
	;; [unrolled: 1-line block ×8, first 2 shown]
	s_mov_b32 s2, s7
	s_mov_b32 s7, 0
	s_lshl_b64 s[0:1], s[6:7], 8
	v_or_b32_e32 v15, s0, v0
	v_mov_b32_e32 v16, s1
	s_waitcnt lgkmcnt(0)
	v_cmp_gt_i64_e32 vcc, s[14:15], v[15:16]
	v_mov_b32_e32 v3, s16
	v_mov_b32_e32 v5, s20
	;; [unrolled: 1-line block ×12, first 2 shown]
	s_and_saveexec_b64 s[14:15], vcc
	s_cbranch_execnz .LBB2_8
; %bb.1:
	s_or_b64 exec, exec, s[14:15]
	s_load_dwordx4 s[12:15], s[4:5], 0xf0
	s_cmp_lg_u64 s[40:41], 0
	s_cbranch_scc0 .LBB2_9
.LBB2_2:
	s_load_dwordx4 s[40:43], s[4:5], 0xb0
	s_waitcnt lgkmcnt(0)
	s_cmp_lg_u64 s[12:13], 0
	s_cbranch_scc0 .LBB2_46
.LBB2_3:
	s_load_dwordx4 s[36:39], s[4:5], 0x78
	s_waitcnt lgkmcnt(0)
	s_cmp_lg_u64 s[40:41], 0
	s_cbranch_scc0 .LBB2_83
.LBB2_4:
	s_load_dwordx4 s[12:15], s[4:5], 0x40
	s_waitcnt lgkmcnt(0)
	s_cmp_lg_u64 s[36:37], 0
	s_cbranch_scc0 .LBB2_120
.LBB2_5:
	s_load_dwordx4 s[24:27], s[4:5], 0x0
	s_waitcnt lgkmcnt(0)
	s_cmp_lg_u64 s[12:13], 0
	s_cbranch_scc0 .LBB2_157
.LBB2_6:
	s_waitcnt lgkmcnt(0)
	s_cmp_lg_u64 s[24:25], 0
	s_cbranch_scc0 .LBB2_194
.LBB2_7:
	s_endpgm
.LBB2_8:
	s_load_dwordx2 s[0:1], s[4:5], 0xe8
	s_load_dwordx2 s[10:11], s[4:5], 0x38
	v_mov_b32_e32 v4, s13
	v_add_co_u32_e32 v3, vcc, s12, v15
	v_addc_co_u32_e32 v4, vcc, v16, v4, vcc
	v_lshlrev_b64 v[3:4], 3, v[3:4]
	s_waitcnt lgkmcnt(0)
	v_mov_b32_e32 v6, s11
	v_add_co_u32_e32 v5, vcc, s10, v3
	v_addc_co_u32_e32 v6, vcc, v6, v4, vcc
	global_load_dwordx2 v[7:8], v[5:6], off
	v_mov_b32_e32 v5, s1
	v_add_co_u32_e32 v3, vcc, s0, v3
	v_addc_co_u32_e32 v4, vcc, v5, v4, vcc
	global_load_dwordx2 v[13:14], v[3:4], off
	v_mov_b32_e32 v5, s21
	v_mov_b32_e32 v11, s20
	;; [unrolled: 1-line block ×8, first 2 shown]
	s_waitcnt vmcnt(1)
	v_cmp_gt_f64_e32 vcc, s[20:21], v[7:8]
	v_cmp_lt_f64_e64 s[0:1], s[24:25], v[7:8]
	v_add_f64 v[3:4], s[16:17], v[7:8]
	s_waitcnt vmcnt(0)
	v_cmp_gt_f64_e64 s[10:11], s[36:37], v[13:14]
	v_cmp_lt_f64_e64 s[12:13], s[44:45], v[13:14]
	v_add_f64 v[9:10], s[28:29], v[13:14]
	v_cndmask_b32_e32 v6, v5, v8, vcc
	v_cndmask_b32_e64 v8, v12, v8, s[0:1]
	v_cndmask_b32_e32 v5, v11, v7, vcc
	v_cndmask_b32_e64 v7, v15, v7, s[0:1]
	v_cndmask_b32_e64 v12, v16, v14, s[10:11]
	v_cndmask_b32_e64 v14, v18, v14, s[12:13]
	v_cndmask_b32_e64 v11, v17, v13, s[10:11]
	v_cndmask_b32_e64 v13, v19, v13, s[12:13]
	s_or_b64 exec, exec, s[14:15]
	s_load_dwordx4 s[12:15], s[4:5], 0xf0
	s_cmp_lg_u64 s[40:41], 0
	s_cbranch_scc1 .LBB2_2
.LBB2_9:
	s_load_dwordx2 s[10:11], s[4:5], 0x178
	s_add_u32 s0, s4, 0x178
	v_mov_b32_e32 v15, 0
	s_addc_u32 s1, s5, 0
	global_load_dword v16, v15, s[4:5] offset:390
	s_waitcnt lgkmcnt(0)
	s_cmp_lt_u32 s6, s10
	s_cselect_b32 s3, 12, 18
	s_add_u32 s0, s0, s3
	s_addc_u32 s1, s1, 0
	global_load_ushort v15, v15, s[0:1]
	v_mbcnt_lo_u32_b32 v17, -1, 0
	v_mbcnt_hi_u32_b32 v23, -1, v17
	s_waitcnt vmcnt(1)
	v_readfirstlane_b32 s0, v16
	s_lshr_b32 s1, s0, 16
	s_and_b32 s0, s0, 0xffff
	s_waitcnt vmcnt(0)
	v_readfirstlane_b32 s3, v15
	s_mul_i32 s0, s0, s3
	v_mul_u32_u24_e32 v16, v1, v15
	v_mul_lo_u32 v15, s0, v2
	s_mul_i32 s34, s0, s1
	s_ashr_i32 s35, s34, 31
	s_and_b32 s0, s34, 63
	s_cmp_lg_u32 s0, 0
	s_cselect_b64 s[48:49], -1, 0
	s_cmp_eq_u32 s0, 0
	v_add3_u32 v24, v16, v0, v15
	s_cbranch_scc1 .LBB2_230
; %bb.10:
	v_and_b32_e32 v19, 64, v23
	v_xor_b32_e32 v17, 1, v24
	v_and_or_b32 v15, v17, 63, v19
	v_lshlrev_b32_e32 v15, 2, v15
	ds_bpermute_b32 v18, v15, v14
	ds_bpermute_b32 v15, v15, v13
	v_xor_b32_e32 v20, 2, v24
	v_cmp_gt_i32_e64 s[0:1], s34, v17
	v_xor_b32_e32 v22, 4, v24
	s_waitcnt lgkmcnt(1)
	v_mov_b32_e32 v16, v18
	s_waitcnt lgkmcnt(0)
	v_cmp_lt_f64_e32 vcc, v[13:14], v[15:16]
	v_and_or_b32 v16, v20, 63, v19
	v_lshlrev_b32_e32 v17, 2, v16
	s_and_b64 vcc, s[0:1], vcc
	v_cndmask_b32_e32 v16, v14, v18, vcc
	v_cndmask_b32_e32 v15, v13, v15, vcc
	ds_bpermute_b32 v21, v17, v16
	ds_bpermute_b32 v17, v17, v15
	v_cmp_gt_i32_e64 s[0:1], s34, v20
	s_waitcnt lgkmcnt(1)
	v_mov_b32_e32 v18, v21
	s_waitcnt lgkmcnt(0)
	v_cmp_lt_f64_e32 vcc, v[15:16], v[17:18]
	v_and_or_b32 v18, v22, 63, v19
	v_lshlrev_b32_e32 v18, 2, v18
	s_and_b64 vcc, s[0:1], vcc
	v_cndmask_b32_e32 v16, v16, v21, vcc
	v_cndmask_b32_e32 v15, v15, v17, vcc
	ds_bpermute_b32 v20, v18, v16
	ds_bpermute_b32 v17, v18, v15
	v_xor_b32_e32 v21, 8, v24
	v_cmp_gt_i32_e64 s[0:1], s34, v22
	v_xor_b32_e32 v22, 16, v24
	s_waitcnt lgkmcnt(1)
	v_mov_b32_e32 v18, v20
	s_waitcnt lgkmcnt(0)
	v_cmp_lt_f64_e32 vcc, v[15:16], v[17:18]
	v_and_or_b32 v18, v21, 63, v19
	v_lshlrev_b32_e32 v18, 2, v18
	s_and_b64 vcc, s[0:1], vcc
	v_cndmask_b32_e32 v16, v16, v20, vcc
	v_cndmask_b32_e32 v15, v15, v17, vcc
	ds_bpermute_b32 v20, v18, v16
	ds_bpermute_b32 v17, v18, v15
	v_cmp_gt_i32_e64 s[0:1], s34, v21
	v_xor_b32_e32 v21, 32, v24
	s_waitcnt lgkmcnt(1)
	v_mov_b32_e32 v18, v20
	s_waitcnt lgkmcnt(0)
	v_cmp_lt_f64_e32 vcc, v[15:16], v[17:18]
	v_and_or_b32 v18, v22, 63, v19
	v_lshlrev_b32_e32 v18, 2, v18
	s_and_b64 vcc, s[0:1], vcc
	v_cndmask_b32_e32 v16, v16, v20, vcc
	v_cndmask_b32_e32 v15, v15, v17, vcc
	ds_bpermute_b32 v20, v18, v16
	ds_bpermute_b32 v17, v18, v15
	v_cmp_gt_i32_e64 s[0:1], s34, v22
	s_waitcnt lgkmcnt(1)
	v_mov_b32_e32 v18, v20
	s_waitcnt lgkmcnt(0)
	v_cmp_lt_f64_e32 vcc, v[15:16], v[17:18]
	v_and_or_b32 v18, v21, 63, v19
	v_lshlrev_b32_e32 v18, 2, v18
	s_and_b64 vcc, s[0:1], vcc
	v_cndmask_b32_e32 v16, v16, v20, vcc
	v_cndmask_b32_e32 v15, v15, v17, vcc
	ds_bpermute_b32 v19, v18, v16
	ds_bpermute_b32 v17, v18, v15
	v_cmp_gt_i32_e64 s[0:1], s34, v21
	s_waitcnt lgkmcnt(1)
	v_mov_b32_e32 v18, v19
	s_waitcnt lgkmcnt(0)
	v_cmp_lt_f64_e32 vcc, v[15:16], v[17:18]
	s_and_b64 vcc, s[0:1], vcc
	v_cndmask_b32_e32 v16, v16, v19, vcc
	v_cndmask_b32_e32 v15, v15, v17, vcc
	s_load_dwordx2 s[52:53], s[4:5], 0x150
	s_cbranch_execnz .LBB2_12
.LBB2_11:
	v_and_b32_e32 v15, 64, v23
	v_add_u32_e32 v19, 64, v15
	v_xor_b32_e32 v15, 1, v23
	v_cmp_lt_i32_e32 vcc, v15, v19
	v_cndmask_b32_e32 v15, v23, v15, vcc
	v_lshlrev_b32_e32 v15, 2, v15
	ds_bpermute_b32 v17, v15, v14
	ds_bpermute_b32 v15, v15, v13
	s_waitcnt lgkmcnt(0)
	v_mov_b32_e32 v16, v17
	v_cmp_lt_f64_e32 vcc, v[13:14], v[15:16]
	v_xor_b32_e32 v16, 2, v23
	v_cmp_lt_i32_e64 s[0:1], v16, v19
	v_cndmask_b32_e64 v16, v23, v16, s[0:1]
	v_lshlrev_b32_e32 v18, 2, v16
	v_cndmask_b32_e32 v16, v14, v17, vcc
	ds_bpermute_b32 v20, v18, v16
	v_cndmask_b32_e32 v15, v13, v15, vcc
	ds_bpermute_b32 v17, v18, v15
	s_waitcnt lgkmcnt(1)
	v_mov_b32_e32 v18, v20
	s_waitcnt lgkmcnt(0)
	v_cmp_lt_f64_e32 vcc, v[15:16], v[17:18]
	v_xor_b32_e32 v18, 4, v23
	v_cmp_lt_i32_e64 s[0:1], v18, v19
	v_cndmask_b32_e64 v18, v23, v18, s[0:1]
	v_lshlrev_b32_e32 v18, 2, v18
	v_cndmask_b32_e32 v16, v16, v20, vcc
	ds_bpermute_b32 v20, v18, v16
	v_cndmask_b32_e32 v15, v15, v17, vcc
	ds_bpermute_b32 v17, v18, v15
	s_waitcnt lgkmcnt(1)
	v_mov_b32_e32 v18, v20
	s_waitcnt lgkmcnt(0)
	;; [unrolled: 12-line block ×4, first 2 shown]
	v_cmp_lt_f64_e32 vcc, v[15:16], v[17:18]
	v_xor_b32_e32 v18, 32, v23
	v_cmp_lt_i32_e64 s[0:1], v18, v19
	v_cndmask_b32_e64 v18, v23, v18, s[0:1]
	v_lshlrev_b32_e32 v18, 2, v18
	v_cndmask_b32_e32 v16, v16, v20, vcc
	v_cndmask_b32_e32 v15, v15, v17, vcc
	ds_bpermute_b32 v19, v18, v16
	ds_bpermute_b32 v17, v18, v15
	s_waitcnt lgkmcnt(1)
	v_mov_b32_e32 v18, v19
	s_waitcnt lgkmcnt(0)
	v_cmp_lt_f64_e32 vcc, v[15:16], v[17:18]
	v_cndmask_b32_e32 v16, v16, v19, vcc
	v_cndmask_b32_e32 v15, v15, v17, vcc
.LBB2_12:
	v_ashrrev_i32_e32 v25, 31, v24
	s_load_dword s3, s[4:5], 0x180
	v_lshrrev_b32_e32 v17, 26, v25
	v_add_u32_e32 v17, v24, v17
	v_ashrrev_i32_e32 v26, 6, v17
	v_and_b32_e32 v17, 0xffffffc0, v17
	v_sub_u32_e32 v17, v24, v17
	s_cmp_gt_i32 s34, 64
	s_cselect_b64 s[50:51], -1, 0
	s_cmpk_lt_i32 s34, 0x41
	v_ashrrev_i32_e32 v18, 31, v17
	s_cbranch_scc1 .LBB2_20
; %bb.13:
	v_cmp_eq_u32_e32 vcc, 0, v17
	s_and_saveexec_b64 s[0:1], vcc
; %bb.14:
	v_lshlrev_b32_e32 v19, 3, v26
	ds_write_b64 v19, v[15:16]
; %bb.15:
	s_or_b64 exec, exec, s[0:1]
	v_add_co_u32_e32 v19, vcc, 63, v24
	v_addc_co_u32_e32 v20, vcc, 0, v25, vcc
	s_mov_b64 s[0:1], 0x7f
	v_cmp_gt_u64_e32 vcc, s[0:1], v[19:20]
	s_waitcnt lgkmcnt(0)
	s_barrier
	s_and_saveexec_b64 s[40:41], vcc
	s_cbranch_execz .LBB2_19
; %bb.16:
	v_lshlrev_b64 v[15:16], 6, v[17:18]
	v_cmp_gt_i64_e32 vcc, s[34:35], v[15:16]
	v_mov_b32_e32 v15, s44
	v_mov_b32_e32 v16, s45
	s_and_saveexec_b64 s[0:1], vcc
; %bb.17:
	v_lshlrev_b32_e32 v15, 3, v17
	ds_read_b64 v[15:16], v15
; %bb.18:
	s_or_b64 exec, exec, s[0:1]
	v_and_b32_e32 v19, 64, v23
	v_add_u32_e32 v21, 64, v19
	v_xor_b32_e32 v19, 1, v23
	v_cmp_lt_i32_e32 vcc, v19, v21
	v_cndmask_b32_e32 v19, v23, v19, vcc
	v_lshlrev_b32_e32 v19, 2, v19
	s_waitcnt lgkmcnt(0)
	ds_bpermute_b32 v22, v19, v16
	ds_bpermute_b32 v19, v19, v15
	s_waitcnt lgkmcnt(1)
	v_mov_b32_e32 v20, v22
	s_waitcnt lgkmcnt(0)
	v_cmp_lt_f64_e32 vcc, v[15:16], v[19:20]
	v_xor_b32_e32 v20, 2, v23
	v_cmp_lt_i32_e64 s[0:1], v20, v21
	v_cndmask_b32_e64 v20, v23, v20, s[0:1]
	v_lshlrev_b32_e32 v20, 2, v20
	v_cndmask_b32_e32 v16, v16, v22, vcc
	ds_bpermute_b32 v22, v20, v16
	v_cndmask_b32_e32 v15, v15, v19, vcc
	ds_bpermute_b32 v19, v20, v15
	s_waitcnt lgkmcnt(1)
	v_mov_b32_e32 v20, v22
	s_waitcnt lgkmcnt(0)
	v_cmp_lt_f64_e32 vcc, v[15:16], v[19:20]
	v_xor_b32_e32 v20, 4, v23
	v_cmp_lt_i32_e64 s[0:1], v20, v21
	v_cndmask_b32_e64 v20, v23, v20, s[0:1]
	v_lshlrev_b32_e32 v20, 2, v20
	v_cndmask_b32_e32 v16, v16, v22, vcc
	ds_bpermute_b32 v22, v20, v16
	v_cndmask_b32_e32 v15, v15, v19, vcc
	ds_bpermute_b32 v19, v20, v15
	s_waitcnt lgkmcnt(1)
	v_mov_b32_e32 v20, v22
	s_waitcnt lgkmcnt(0)
	v_cmp_lt_f64_e32 vcc, v[15:16], v[19:20]
	v_xor_b32_e32 v20, 8, v23
	v_cmp_lt_i32_e64 s[0:1], v20, v21
	v_cndmask_b32_e64 v20, v23, v20, s[0:1]
	v_lshlrev_b32_e32 v20, 2, v20
	v_cndmask_b32_e32 v16, v16, v22, vcc
	v_cndmask_b32_e32 v15, v15, v19, vcc
	ds_bpermute_b32 v21, v20, v16
	ds_bpermute_b32 v19, v20, v15
	s_waitcnt lgkmcnt(1)
	v_mov_b32_e32 v20, v21
	s_waitcnt lgkmcnt(0)
	v_cmp_lt_f64_e32 vcc, v[15:16], v[19:20]
	v_cndmask_b32_e32 v16, v16, v21, vcc
	v_cndmask_b32_e32 v15, v15, v19, vcc
.LBB2_19:
	s_or_b64 exec, exec, s[40:41]
	s_barrier
.LBB2_20:
	s_mul_i32 s0, s10, s2
	s_mul_i32 s1, s11, s10
	s_add_i32 s0, s0, s6
	s_mul_i32 s7, s1, s8
	s_add_i32 s0, s0, s7
	s_waitcnt lgkmcnt(0)
	s_mul_i32 s7, s3, s1
	s_ashr_i32 s1, s0, 31
	s_lshr_b32 s1, s1, 27
	s_add_i32 s9, s0, s1
	s_and_b32 s1, s9, 0xffffffe0
	s_sub_i32 s40, s0, s1
	s_ashr_i32 s0, s7, 31
	s_lshr_b32 s0, s0, 27
	s_add_i32 s0, s7, s0
	s_ashr_i32 s3, s0, 5
	s_andn2_b32 s0, s0, 31
	s_sub_i32 s0, s7, s0
	s_cmp_lt_i32 s40, s0
	s_cselect_b64 s[0:1], -1, 0
	s_cmp_lg_u64 s[0:1], 0
	s_addc_u32 s3, s3, 0
	s_cmp_gt_u32 s3, 1
	v_cmp_eq_u32_e64 s[0:1], 0, v24
	s_cbranch_scc0 .LBB2_41
; %bb.21:
	s_add_i32 s7, s7, 31
	s_ashr_i32 s10, s7, 31
	s_lshr_b32 s10, s10, 27
	s_add_i32 s7, s7, s10
	s_ashr_i32 s7, s7, 5
	s_mul_i32 s7, s7, s40
	s_and_saveexec_b64 s[10:11], s[0:1]
	s_cbranch_execz .LBB2_23
; %bb.22:
	s_ashr_i32 s9, s9, 5
	s_add_i32 s56, s7, s9
	s_ashr_i32 s57, s56, 31
	s_lshl_b32 s54, s40, 3
	s_lshl_b64 s[56:57], s[56:57], 3
	s_add_u32 s56, s52, s56
	s_addc_u32 s57, s53, s57
	s_ashr_i32 s55, s54, 31
	s_lshl_b64 s[54:55], s[54:55], 2
	v_mov_b32_e32 v19, s56
	s_add_u32 s46, s46, s54
	v_mov_b32_e32 v20, s57
	s_addc_u32 s47, s47, s55
	s_add_i32 s9, s3, -1
	flat_store_dwordx2 v[19:20], v[15:16]
	v_mov_b32_e32 v19, 0
	v_mov_b32_e32 v20, s9
	s_waitcnt vmcnt(0) lgkmcnt(0)
	global_atomic_inc v20, v19, v20, s[46:47] glc
	s_waitcnt vmcnt(0)
	v_cmp_eq_u32_e32 vcc, s9, v20
	v_cndmask_b32_e64 v20, 0, 1, vcc
	ds_write_b8 v19, v20 offset:384
.LBB2_23:
	s_or_b64 exec, exec, s[10:11]
	v_mov_b32_e32 v19, 0
	s_waitcnt lgkmcnt(0)
	s_barrier
	ds_read_u8 v19, v19 offset:384
	s_mov_b64 s[10:11], 0
	s_waitcnt lgkmcnt(0)
	v_and_b32_e32 v19, 1, v19
	v_cmp_eq_u32_e32 vcc, 0, v19
	v_mov_b32_e32 v20, v14
	v_mov_b32_e32 v19, v13
	s_cbranch_vccnz .LBB2_40
; %bb.24:
	v_mov_b32_e32 v19, s44
	v_cmp_gt_u32_e32 vcc, s3, v24
	v_mov_b32_e32 v20, s45
	s_and_saveexec_b64 s[46:47], vcc
	s_cbranch_execz .LBB2_28
; %bb.25:
	v_mov_b32_e32 v19, s44
	s_mov_b64 s[54:55], 0
	v_mov_b32_e32 v20, s45
	v_mov_b32_e32 v22, 0
	v_mov_b32_e32 v27, s53
	v_mov_b32_e32 v28, v24
.LBB2_26:                               ; =>This Inner Loop Header: Depth=1
	v_add_u32_e32 v21, s7, v28
	v_lshlrev_b64 v[29:30], 3, v[21:22]
	v_add_u32_e32 v28, s34, v28
	v_add_co_u32_e32 v29, vcc, s52, v29
	v_addc_co_u32_e32 v30, vcc, v27, v30, vcc
	flat_load_dwordx2 v[29:30], v[29:30] glc
	v_cmp_le_u32_e64 s[10:11], s3, v28
	s_or_b64 s[54:55], s[10:11], s[54:55]
	s_waitcnt vmcnt(0) lgkmcnt(0)
	v_cmp_lt_f64_e32 vcc, v[19:20], v[29:30]
	v_cndmask_b32_e32 v20, v20, v30, vcc
	v_cndmask_b32_e32 v19, v19, v29, vcc
	s_andn2_b64 exec, exec, s[54:55]
	s_cbranch_execnz .LBB2_26
; %bb.27:
	s_or_b64 exec, exec, s[54:55]
.LBB2_28:
	s_or_b64 exec, exec, s[46:47]
	s_andn2_b64 vcc, exec, s[48:49]
	s_cbranch_vccnz .LBB2_236
; %bb.29:
	v_and_b32_e32 v29, 64, v23
	v_xor_b32_e32 v27, 1, v24
	v_and_or_b32 v21, v27, 63, v29
	v_lshlrev_b32_e32 v21, 2, v21
	ds_bpermute_b32 v28, v21, v20
	ds_bpermute_b32 v21, v21, v19
	v_xor_b32_e32 v30, 2, v24
	v_cmp_gt_i32_e64 s[10:11], s34, v27
	v_xor_b32_e32 v32, 4, v24
	s_waitcnt lgkmcnt(1)
	v_mov_b32_e32 v22, v28
	s_waitcnt lgkmcnt(0)
	v_cmp_lt_f64_e32 vcc, v[19:20], v[21:22]
	v_and_or_b32 v22, v30, 63, v29
	v_lshlrev_b32_e32 v27, 2, v22
	s_and_b64 vcc, s[10:11], vcc
	v_cndmask_b32_e32 v22, v20, v28, vcc
	v_cndmask_b32_e32 v21, v19, v21, vcc
	ds_bpermute_b32 v31, v27, v22
	ds_bpermute_b32 v27, v27, v21
	v_cmp_gt_i32_e64 s[10:11], s34, v30
	s_waitcnt lgkmcnt(1)
	v_mov_b32_e32 v28, v31
	s_waitcnt lgkmcnt(0)
	v_cmp_lt_f64_e32 vcc, v[21:22], v[27:28]
	v_and_or_b32 v28, v32, 63, v29
	v_lshlrev_b32_e32 v28, 2, v28
	s_and_b64 vcc, s[10:11], vcc
	v_cndmask_b32_e32 v22, v22, v31, vcc
	v_cndmask_b32_e32 v21, v21, v27, vcc
	ds_bpermute_b32 v30, v28, v22
	ds_bpermute_b32 v27, v28, v21
	v_xor_b32_e32 v31, 8, v24
	v_cmp_gt_i32_e64 s[10:11], s34, v32
	v_xor_b32_e32 v32, 16, v24
	s_waitcnt lgkmcnt(1)
	v_mov_b32_e32 v28, v30
	s_waitcnt lgkmcnt(0)
	v_cmp_lt_f64_e32 vcc, v[21:22], v[27:28]
	v_and_or_b32 v28, v31, 63, v29
	v_lshlrev_b32_e32 v28, 2, v28
	s_and_b64 vcc, s[10:11], vcc
	v_cndmask_b32_e32 v22, v22, v30, vcc
	v_cndmask_b32_e32 v21, v21, v27, vcc
	ds_bpermute_b32 v30, v28, v22
	ds_bpermute_b32 v27, v28, v21
	v_cmp_gt_i32_e64 s[10:11], s34, v31
	v_xor_b32_e32 v31, 32, v24
	s_waitcnt lgkmcnt(1)
	v_mov_b32_e32 v28, v30
	s_waitcnt lgkmcnt(0)
	v_cmp_lt_f64_e32 vcc, v[21:22], v[27:28]
	v_and_or_b32 v28, v32, 63, v29
	v_lshlrev_b32_e32 v28, 2, v28
	s_and_b64 vcc, s[10:11], vcc
	v_cndmask_b32_e32 v22, v22, v30, vcc
	v_cndmask_b32_e32 v21, v21, v27, vcc
	ds_bpermute_b32 v30, v28, v22
	ds_bpermute_b32 v27, v28, v21
	v_cmp_gt_i32_e64 s[10:11], s34, v32
	s_waitcnt lgkmcnt(1)
	v_mov_b32_e32 v28, v30
	s_waitcnt lgkmcnt(0)
	v_cmp_lt_f64_e32 vcc, v[21:22], v[27:28]
	v_and_or_b32 v28, v31, 63, v29
	v_lshlrev_b32_e32 v28, 2, v28
	s_and_b64 vcc, s[10:11], vcc
	v_cndmask_b32_e32 v22, v22, v30, vcc
	v_cndmask_b32_e32 v21, v21, v27, vcc
	ds_bpermute_b32 v29, v28, v22
	ds_bpermute_b32 v27, v28, v21
	v_cmp_gt_i32_e64 s[10:11], s34, v31
	s_waitcnt lgkmcnt(1)
	v_mov_b32_e32 v28, v29
	s_waitcnt lgkmcnt(0)
	v_cmp_lt_f64_e32 vcc, v[21:22], v[27:28]
	s_and_b64 vcc, s[10:11], vcc
	v_cndmask_b32_e32 v22, v22, v29, vcc
	v_cndmask_b32_e32 v21, v21, v27, vcc
	s_cbranch_execnz .LBB2_31
.LBB2_30:
	v_and_b32_e32 v21, 64, v23
	v_add_u32_e32 v27, 64, v21
	v_xor_b32_e32 v21, 1, v23
	v_cmp_lt_i32_e32 vcc, v21, v27
	v_cndmask_b32_e32 v21, v23, v21, vcc
	v_lshlrev_b32_e32 v21, 2, v21
	ds_bpermute_b32 v28, v21, v20
	ds_bpermute_b32 v21, v21, v19
	s_waitcnt lgkmcnt(1)
	v_mov_b32_e32 v22, v28
	s_waitcnt lgkmcnt(0)
	v_cmp_lt_f64_e32 vcc, v[19:20], v[21:22]
	v_xor_b32_e32 v22, 2, v23
	v_cmp_lt_i32_e64 s[10:11], v22, v27
	v_cndmask_b32_e64 v22, v23, v22, s[10:11]
	v_lshlrev_b32_e32 v22, 2, v22
	v_cndmask_b32_e32 v20, v20, v28, vcc
	ds_bpermute_b32 v28, v22, v20
	v_cndmask_b32_e32 v19, v19, v21, vcc
	ds_bpermute_b32 v21, v22, v19
	s_waitcnt lgkmcnt(1)
	v_mov_b32_e32 v22, v28
	s_waitcnt lgkmcnt(0)
	v_cmp_lt_f64_e32 vcc, v[19:20], v[21:22]
	v_xor_b32_e32 v22, 4, v23
	v_cmp_lt_i32_e64 s[10:11], v22, v27
	v_cndmask_b32_e64 v22, v23, v22, s[10:11]
	v_lshlrev_b32_e32 v22, 2, v22
	v_cndmask_b32_e32 v20, v20, v28, vcc
	ds_bpermute_b32 v28, v22, v20
	v_cndmask_b32_e32 v19, v19, v21, vcc
	ds_bpermute_b32 v21, v22, v19
	s_waitcnt lgkmcnt(1)
	v_mov_b32_e32 v22, v28
	s_waitcnt lgkmcnt(0)
	v_cmp_lt_f64_e32 vcc, v[19:20], v[21:22]
	v_xor_b32_e32 v22, 8, v23
	v_cmp_lt_i32_e64 s[10:11], v22, v27
	v_cndmask_b32_e64 v22, v23, v22, s[10:11]
	v_lshlrev_b32_e32 v22, 2, v22
	v_cndmask_b32_e32 v20, v20, v28, vcc
	ds_bpermute_b32 v28, v22, v20
	v_cndmask_b32_e32 v19, v19, v21, vcc
	ds_bpermute_b32 v21, v22, v19
	s_waitcnt lgkmcnt(1)
	v_mov_b32_e32 v22, v28
	s_waitcnt lgkmcnt(0)
	v_cmp_lt_f64_e32 vcc, v[19:20], v[21:22]
	v_xor_b32_e32 v22, 16, v23
	v_cmp_lt_i32_e64 s[10:11], v22, v27
	v_cndmask_b32_e64 v22, v23, v22, s[10:11]
	v_lshlrev_b32_e32 v22, 2, v22
	v_cndmask_b32_e32 v20, v20, v28, vcc
	ds_bpermute_b32 v28, v22, v20
	v_cndmask_b32_e32 v19, v19, v21, vcc
	ds_bpermute_b32 v21, v22, v19
	s_waitcnt lgkmcnt(1)
	v_mov_b32_e32 v22, v28
	s_waitcnt lgkmcnt(0)
	v_cmp_lt_f64_e32 vcc, v[19:20], v[21:22]
	v_xor_b32_e32 v22, 32, v23
	v_cmp_lt_i32_e64 s[10:11], v22, v27
	v_cndmask_b32_e64 v22, v23, v22, s[10:11]
	v_lshlrev_b32_e32 v22, 2, v22
	v_cndmask_b32_e32 v20, v20, v28, vcc
	v_cndmask_b32_e32 v19, v19, v21, vcc
	ds_bpermute_b32 v27, v22, v20
	ds_bpermute_b32 v21, v22, v19
	s_waitcnt lgkmcnt(1)
	v_mov_b32_e32 v22, v27
	s_waitcnt lgkmcnt(0)
	v_cmp_lt_f64_e32 vcc, v[19:20], v[21:22]
	v_cndmask_b32_e32 v22, v20, v27, vcc
	v_cndmask_b32_e32 v21, v19, v21, vcc
.LBB2_31:
	s_andn2_b64 vcc, exec, s[50:51]
	s_cbranch_vccnz .LBB2_39
; %bb.32:
	v_cmp_eq_u32_e32 vcc, 0, v17
	s_and_saveexec_b64 s[10:11], vcc
; %bb.33:
	v_lshlrev_b32_e32 v19, 3, v26
	ds_write_b64 v19, v[21:22]
; %bb.34:
	s_or_b64 exec, exec, s[10:11]
	v_add_co_u32_e32 v19, vcc, 63, v24
	v_addc_co_u32_e32 v20, vcc, 0, v25, vcc
	s_mov_b64 s[10:11], 0x7f
	v_cmp_gt_u64_e32 vcc, s[10:11], v[19:20]
	s_waitcnt lgkmcnt(0)
	s_barrier
	s_and_saveexec_b64 s[46:47], vcc
	s_cbranch_execz .LBB2_38
; %bb.35:
	v_lshlrev_b64 v[18:19], 6, v[17:18]
	v_cmp_gt_i64_e32 vcc, s[34:35], v[18:19]
	v_mov_b32_e32 v18, s44
	v_mov_b32_e32 v19, s45
	s_and_saveexec_b64 s[10:11], vcc
; %bb.36:
	v_lshlrev_b32_e32 v17, 3, v17
	ds_read_b64 v[18:19], v17
; %bb.37:
	s_or_b64 exec, exec, s[10:11]
	v_and_b32_e32 v17, 64, v23
	v_add_u32_e32 v17, 64, v17
	v_xor_b32_e32 v20, 1, v23
	v_cmp_lt_i32_e32 vcc, v20, v17
	v_cndmask_b32_e32 v20, v23, v20, vcc
	v_lshlrev_b32_e32 v20, 2, v20
	s_waitcnt lgkmcnt(0)
	ds_bpermute_b32 v22, v20, v19
	ds_bpermute_b32 v20, v20, v18
	s_waitcnt lgkmcnt(1)
	v_mov_b32_e32 v21, v22
	s_waitcnt lgkmcnt(0)
	v_cmp_lt_f64_e32 vcc, v[18:19], v[20:21]
	v_xor_b32_e32 v21, 2, v23
	v_cmp_lt_i32_e64 s[10:11], v21, v17
	v_cndmask_b32_e64 v21, v23, v21, s[10:11]
	v_lshlrev_b32_e32 v21, 2, v21
	v_cndmask_b32_e32 v19, v19, v22, vcc
	ds_bpermute_b32 v22, v21, v19
	v_cndmask_b32_e32 v18, v18, v20, vcc
	ds_bpermute_b32 v20, v21, v18
	s_waitcnt lgkmcnt(1)
	v_mov_b32_e32 v21, v22
	s_waitcnt lgkmcnt(0)
	v_cmp_lt_f64_e32 vcc, v[18:19], v[20:21]
	v_xor_b32_e32 v21, 4, v23
	v_cmp_lt_i32_e64 s[10:11], v21, v17
	v_cndmask_b32_e64 v21, v23, v21, s[10:11]
	v_lshlrev_b32_e32 v21, 2, v21
	v_cndmask_b32_e32 v19, v19, v22, vcc
	ds_bpermute_b32 v22, v21, v19
	v_cndmask_b32_e32 v18, v18, v20, vcc
	ds_bpermute_b32 v20, v21, v18
	s_waitcnt lgkmcnt(1)
	v_mov_b32_e32 v21, v22
	s_waitcnt lgkmcnt(0)
	v_cmp_lt_f64_e32 vcc, v[18:19], v[20:21]
	v_xor_b32_e32 v21, 8, v23
	v_cmp_lt_i32_e64 s[10:11], v21, v17
	v_cndmask_b32_e64 v17, v23, v21, s[10:11]
	v_lshlrev_b32_e32 v17, 2, v17
	v_cndmask_b32_e32 v19, v19, v22, vcc
	v_cndmask_b32_e32 v18, v18, v20, vcc
	ds_bpermute_b32 v22, v17, v19
	ds_bpermute_b32 v20, v17, v18
	s_waitcnt lgkmcnt(1)
	v_mov_b32_e32 v21, v22
	s_waitcnt lgkmcnt(0)
	v_cmp_lt_f64_e32 vcc, v[18:19], v[20:21]
	v_cndmask_b32_e32 v22, v19, v22, vcc
	v_cndmask_b32_e32 v21, v18, v20, vcc
.LBB2_38:
	s_or_b64 exec, exec, s[46:47]
	s_barrier
.LBB2_39:
	v_mov_b32_e32 v17, 0
	ds_read_u8 v17, v17 offset:384
	v_cndmask_b32_e64 v20, v14, v22, s[0:1]
	v_cndmask_b32_e64 v19, v13, v21, s[0:1]
	s_waitcnt lgkmcnt(0)
	v_and_b32_e32 v17, 1, v17
	v_cmp_eq_u32_e64 s[10:11], 1, v17
.LBB2_40:
	s_and_b64 s[10:11], s[0:1], s[10:11]
	s_branch .LBB2_43
.LBB2_41:
                                        ; implicit-def: $sgpr10_sgpr11
                                        ; implicit-def: $vgpr19_vgpr20
	s_cbranch_execz .LBB2_43
; %bb.42:
	v_cndmask_b32_e64 v20, v14, v16, s[0:1]
	v_cndmask_b32_e64 v19, v13, v15, s[0:1]
	s_andn2_b64 s[10:11], s[10:11], exec
	s_and_b64 s[0:1], s[0:1], exec
	s_or_b64 s[10:11], s[10:11], s[0:1]
.LBB2_43:
	s_and_saveexec_b64 s[0:1], s[10:11]
	s_cbranch_execz .LBB2_45
; %bb.44:
	s_ashr_i32 s41, s40, 31
	s_lshl_b64 s[10:11], s[40:41], 3
	s_add_u32 s10, s42, s10
	s_addc_u32 s11, s43, s11
	v_mov_b32_e32 v14, s11
	v_mov_b32_e32 v13, s10
	flat_store_dwordx2 v[13:14], v[19:20]
.LBB2_45:
	s_or_b64 exec, exec, s[0:1]
	s_load_dwordx4 s[40:43], s[4:5], 0xb0
	s_cmp_lg_u64 s[12:13], 0
	s_cbranch_scc1 .LBB2_3
.LBB2_46:
	s_load_dwordx2 s[10:11], s[4:5], 0x178
	s_add_u32 s0, s4, 0x178
	v_mov_b32_e32 v13, 0
	s_addc_u32 s1, s5, 0
	global_load_dword v14, v13, s[4:5] offset:390
	s_waitcnt lgkmcnt(0)
	s_cmp_lt_u32 s6, s10
	s_cselect_b32 s3, 12, 18
	s_add_u32 s0, s0, s3
	s_addc_u32 s1, s1, 0
	global_load_ushort v13, v13, s[0:1]
	v_mbcnt_lo_u32_b32 v15, -1, 0
	v_mbcnt_hi_u32_b32 v21, -1, v15
	s_waitcnt vmcnt(0)
	v_readfirstlane_b32 s0, v14
	s_lshr_b32 s1, s0, 16
	s_and_b32 s0, s0, 0xffff
	v_readfirstlane_b32 s3, v13
	s_mul_i32 s0, s0, s3
	v_mul_u32_u24_e32 v14, v1, v13
	v_mul_lo_u32 v13, s0, v2
	s_mul_i32 s12, s0, s1
	s_ashr_i32 s13, s12, 31
	s_and_b32 s0, s12, 63
	s_cmp_lg_u32 s0, 0
	s_cselect_b64 s[44:45], -1, 0
	s_cmp_eq_u32 s0, 0
	v_add3_u32 v22, v14, v0, v13
	s_cbranch_scc1 .LBB2_231
; %bb.47:
	v_and_b32_e32 v17, 64, v21
	v_xor_b32_e32 v15, 1, v22
	v_and_or_b32 v13, v15, 63, v17
	v_lshlrev_b32_e32 v13, 2, v13
	ds_bpermute_b32 v16, v13, v12
	ds_bpermute_b32 v13, v13, v11
	v_xor_b32_e32 v18, 2, v22
	v_cmp_gt_i32_e64 s[0:1], s12, v15
	v_xor_b32_e32 v20, 4, v22
	s_waitcnt lgkmcnt(1)
	v_mov_b32_e32 v14, v16
	s_waitcnt lgkmcnt(0)
	v_cmp_gt_f64_e32 vcc, v[11:12], v[13:14]
	v_and_or_b32 v14, v18, 63, v17
	v_lshlrev_b32_e32 v15, 2, v14
	s_and_b64 vcc, s[0:1], vcc
	v_cndmask_b32_e32 v14, v12, v16, vcc
	v_cndmask_b32_e32 v13, v11, v13, vcc
	ds_bpermute_b32 v19, v15, v14
	ds_bpermute_b32 v15, v15, v13
	v_cmp_gt_i32_e64 s[0:1], s12, v18
	s_waitcnt lgkmcnt(1)
	v_mov_b32_e32 v16, v19
	s_waitcnt lgkmcnt(0)
	v_cmp_gt_f64_e32 vcc, v[13:14], v[15:16]
	v_and_or_b32 v16, v20, 63, v17
	v_lshlrev_b32_e32 v16, 2, v16
	s_and_b64 vcc, s[0:1], vcc
	v_cndmask_b32_e32 v14, v14, v19, vcc
	v_cndmask_b32_e32 v13, v13, v15, vcc
	ds_bpermute_b32 v18, v16, v14
	ds_bpermute_b32 v15, v16, v13
	v_xor_b32_e32 v19, 8, v22
	v_cmp_gt_i32_e64 s[0:1], s12, v20
	v_xor_b32_e32 v20, 16, v22
	s_waitcnt lgkmcnt(1)
	v_mov_b32_e32 v16, v18
	s_waitcnt lgkmcnt(0)
	v_cmp_gt_f64_e32 vcc, v[13:14], v[15:16]
	v_and_or_b32 v16, v19, 63, v17
	v_lshlrev_b32_e32 v16, 2, v16
	s_and_b64 vcc, s[0:1], vcc
	v_cndmask_b32_e32 v14, v14, v18, vcc
	v_cndmask_b32_e32 v13, v13, v15, vcc
	ds_bpermute_b32 v18, v16, v14
	ds_bpermute_b32 v15, v16, v13
	v_cmp_gt_i32_e64 s[0:1], s12, v19
	v_xor_b32_e32 v19, 32, v22
	s_waitcnt lgkmcnt(1)
	v_mov_b32_e32 v16, v18
	s_waitcnt lgkmcnt(0)
	v_cmp_gt_f64_e32 vcc, v[13:14], v[15:16]
	v_and_or_b32 v16, v20, 63, v17
	v_lshlrev_b32_e32 v16, 2, v16
	s_and_b64 vcc, s[0:1], vcc
	v_cndmask_b32_e32 v14, v14, v18, vcc
	v_cndmask_b32_e32 v13, v13, v15, vcc
	ds_bpermute_b32 v18, v16, v14
	ds_bpermute_b32 v15, v16, v13
	v_cmp_gt_i32_e64 s[0:1], s12, v20
	s_waitcnt lgkmcnt(1)
	v_mov_b32_e32 v16, v18
	s_waitcnt lgkmcnt(0)
	v_cmp_gt_f64_e32 vcc, v[13:14], v[15:16]
	v_and_or_b32 v16, v19, 63, v17
	v_lshlrev_b32_e32 v16, 2, v16
	s_and_b64 vcc, s[0:1], vcc
	v_cndmask_b32_e32 v14, v14, v18, vcc
	v_cndmask_b32_e32 v13, v13, v15, vcc
	ds_bpermute_b32 v17, v16, v14
	ds_bpermute_b32 v15, v16, v13
	v_cmp_gt_i32_e64 s[0:1], s12, v19
	s_waitcnt lgkmcnt(1)
	v_mov_b32_e32 v16, v17
	s_waitcnt lgkmcnt(0)
	v_cmp_gt_f64_e32 vcc, v[13:14], v[15:16]
	s_and_b64 vcc, s[0:1], vcc
	v_cndmask_b32_e32 v14, v14, v17, vcc
	v_cndmask_b32_e32 v13, v13, v15, vcc
	s_load_dwordx2 s[48:49], s[4:5], 0x118
	s_cbranch_execnz .LBB2_49
.LBB2_48:
	v_and_b32_e32 v13, 64, v21
	v_add_u32_e32 v17, 64, v13
	v_xor_b32_e32 v13, 1, v21
	v_cmp_lt_i32_e32 vcc, v13, v17
	v_cndmask_b32_e32 v13, v21, v13, vcc
	v_lshlrev_b32_e32 v13, 2, v13
	ds_bpermute_b32 v15, v13, v12
	ds_bpermute_b32 v13, v13, v11
	s_waitcnt lgkmcnt(0)
	v_mov_b32_e32 v14, v15
	v_cmp_gt_f64_e32 vcc, v[11:12], v[13:14]
	v_xor_b32_e32 v14, 2, v21
	v_cmp_lt_i32_e64 s[0:1], v14, v17
	v_cndmask_b32_e64 v14, v21, v14, s[0:1]
	v_lshlrev_b32_e32 v16, 2, v14
	v_cndmask_b32_e32 v14, v12, v15, vcc
	ds_bpermute_b32 v18, v16, v14
	v_cndmask_b32_e32 v13, v11, v13, vcc
	ds_bpermute_b32 v15, v16, v13
	s_waitcnt lgkmcnt(1)
	v_mov_b32_e32 v16, v18
	s_waitcnt lgkmcnt(0)
	v_cmp_gt_f64_e32 vcc, v[13:14], v[15:16]
	v_xor_b32_e32 v16, 4, v21
	v_cmp_lt_i32_e64 s[0:1], v16, v17
	v_cndmask_b32_e64 v16, v21, v16, s[0:1]
	v_lshlrev_b32_e32 v16, 2, v16
	v_cndmask_b32_e32 v14, v14, v18, vcc
	ds_bpermute_b32 v18, v16, v14
	v_cndmask_b32_e32 v13, v13, v15, vcc
	ds_bpermute_b32 v15, v16, v13
	s_waitcnt lgkmcnt(1)
	v_mov_b32_e32 v16, v18
	s_waitcnt lgkmcnt(0)
	;; [unrolled: 12-line block ×4, first 2 shown]
	v_cmp_gt_f64_e32 vcc, v[13:14], v[15:16]
	v_xor_b32_e32 v16, 32, v21
	v_cmp_lt_i32_e64 s[0:1], v16, v17
	v_cndmask_b32_e64 v16, v21, v16, s[0:1]
	v_lshlrev_b32_e32 v16, 2, v16
	v_cndmask_b32_e32 v14, v14, v18, vcc
	v_cndmask_b32_e32 v13, v13, v15, vcc
	ds_bpermute_b32 v17, v16, v14
	ds_bpermute_b32 v15, v16, v13
	s_waitcnt lgkmcnt(1)
	v_mov_b32_e32 v16, v17
	s_waitcnt lgkmcnt(0)
	v_cmp_gt_f64_e32 vcc, v[13:14], v[15:16]
	v_cndmask_b32_e32 v14, v14, v17, vcc
	v_cndmask_b32_e32 v13, v13, v15, vcc
.LBB2_49:
	v_ashrrev_i32_e32 v23, 31, v22
	s_load_dword s3, s[4:5], 0x180
	v_lshrrev_b32_e32 v15, 26, v23
	v_add_u32_e32 v15, v22, v15
	v_ashrrev_i32_e32 v24, 6, v15
	v_and_b32_e32 v15, 0xffffffc0, v15
	v_sub_u32_e32 v15, v22, v15
	s_cmp_gt_i32 s12, 64
	s_cselect_b64 s[46:47], -1, 0
	s_cmpk_lt_i32 s12, 0x41
	v_ashrrev_i32_e32 v16, 31, v15
	s_cbranch_scc1 .LBB2_57
; %bb.50:
	v_cmp_eq_u32_e32 vcc, 0, v15
	s_and_saveexec_b64 s[0:1], vcc
; %bb.51:
	v_lshlrev_b32_e32 v17, 3, v24
	ds_write_b64 v17, v[13:14] offset:128
; %bb.52:
	s_or_b64 exec, exec, s[0:1]
	v_add_co_u32_e32 v17, vcc, 63, v22
	v_addc_co_u32_e32 v18, vcc, 0, v23, vcc
	s_mov_b64 s[0:1], 0x7f
	v_cmp_gt_u64_e32 vcc, s[0:1], v[17:18]
	s_waitcnt lgkmcnt(0)
	s_barrier
	s_and_saveexec_b64 s[34:35], vcc
	s_cbranch_execz .LBB2_56
; %bb.53:
	v_lshlrev_b64 v[13:14], 6, v[15:16]
	v_cmp_gt_i64_e32 vcc, s[12:13], v[13:14]
	v_mov_b32_e32 v13, s36
	v_mov_b32_e32 v14, s37
	s_and_saveexec_b64 s[0:1], vcc
; %bb.54:
	v_lshlrev_b32_e32 v13, 3, v15
	ds_read_b64 v[13:14], v13 offset:128
; %bb.55:
	s_or_b64 exec, exec, s[0:1]
	v_and_b32_e32 v17, 64, v21
	v_add_u32_e32 v19, 64, v17
	v_xor_b32_e32 v17, 1, v21
	v_cmp_lt_i32_e32 vcc, v17, v19
	v_cndmask_b32_e32 v17, v21, v17, vcc
	v_lshlrev_b32_e32 v17, 2, v17
	s_waitcnt lgkmcnt(0)
	ds_bpermute_b32 v20, v17, v14
	ds_bpermute_b32 v17, v17, v13
	s_waitcnt lgkmcnt(1)
	v_mov_b32_e32 v18, v20
	s_waitcnt lgkmcnt(0)
	v_cmp_gt_f64_e32 vcc, v[13:14], v[17:18]
	v_xor_b32_e32 v18, 2, v21
	v_cmp_lt_i32_e64 s[0:1], v18, v19
	v_cndmask_b32_e64 v18, v21, v18, s[0:1]
	v_lshlrev_b32_e32 v18, 2, v18
	v_cndmask_b32_e32 v14, v14, v20, vcc
	ds_bpermute_b32 v20, v18, v14
	v_cndmask_b32_e32 v13, v13, v17, vcc
	ds_bpermute_b32 v17, v18, v13
	s_waitcnt lgkmcnt(1)
	v_mov_b32_e32 v18, v20
	s_waitcnt lgkmcnt(0)
	v_cmp_gt_f64_e32 vcc, v[13:14], v[17:18]
	v_xor_b32_e32 v18, 4, v21
	v_cmp_lt_i32_e64 s[0:1], v18, v19
	v_cndmask_b32_e64 v18, v21, v18, s[0:1]
	v_lshlrev_b32_e32 v18, 2, v18
	v_cndmask_b32_e32 v14, v14, v20, vcc
	ds_bpermute_b32 v20, v18, v14
	v_cndmask_b32_e32 v13, v13, v17, vcc
	ds_bpermute_b32 v17, v18, v13
	s_waitcnt lgkmcnt(1)
	v_mov_b32_e32 v18, v20
	s_waitcnt lgkmcnt(0)
	v_cmp_gt_f64_e32 vcc, v[13:14], v[17:18]
	v_xor_b32_e32 v18, 8, v21
	v_cmp_lt_i32_e64 s[0:1], v18, v19
	v_cndmask_b32_e64 v18, v21, v18, s[0:1]
	v_lshlrev_b32_e32 v18, 2, v18
	v_cndmask_b32_e32 v14, v14, v20, vcc
	v_cndmask_b32_e32 v13, v13, v17, vcc
	ds_bpermute_b32 v19, v18, v14
	ds_bpermute_b32 v17, v18, v13
	s_waitcnt lgkmcnt(1)
	v_mov_b32_e32 v18, v19
	s_waitcnt lgkmcnt(0)
	v_cmp_gt_f64_e32 vcc, v[13:14], v[17:18]
	v_cndmask_b32_e32 v14, v14, v19, vcc
	v_cndmask_b32_e32 v13, v13, v17, vcc
.LBB2_56:
	s_or_b64 exec, exec, s[34:35]
	s_barrier
.LBB2_57:
	s_mul_i32 s0, s10, s2
	s_mul_i32 s1, s11, s10
	s_add_i32 s0, s0, s6
	s_mul_i32 s7, s1, s8
	s_add_i32 s0, s0, s7
	s_waitcnt lgkmcnt(0)
	s_mul_i32 s7, s3, s1
	s_ashr_i32 s1, s0, 31
	s_lshr_b32 s1, s1, 27
	s_add_i32 s9, s0, s1
	s_and_b32 s1, s9, 0xffffffe0
	s_sub_i32 s34, s0, s1
	s_ashr_i32 s0, s7, 31
	s_lshr_b32 s0, s0, 27
	s_add_i32 s0, s7, s0
	s_ashr_i32 s3, s0, 5
	s_andn2_b32 s0, s0, 31
	s_sub_i32 s0, s7, s0
	s_cmp_lt_i32 s34, s0
	s_cselect_b64 s[0:1], -1, 0
	s_cmp_lg_u64 s[0:1], 0
	s_addc_u32 s3, s3, 0
	s_cmp_gt_u32 s3, 1
	v_cmp_eq_u32_e64 s[0:1], 0, v22
	s_cbranch_scc0 .LBB2_78
; %bb.58:
	s_add_i32 s7, s7, 31
	s_ashr_i32 s10, s7, 31
	s_lshr_b32 s10, s10, 27
	s_add_i32 s7, s7, s10
	s_ashr_i32 s7, s7, 5
	s_mul_i32 s7, s7, s34
	s_and_saveexec_b64 s[10:11], s[0:1]
	s_cbranch_execz .LBB2_60
; %bb.59:
	s_ashr_i32 s9, s9, 5
	s_add_i32 s52, s7, s9
	s_ashr_i32 s53, s52, 31
	s_lshl_b32 s50, s34, 3
	s_lshl_b64 s[52:53], s[52:53], 3
	s_add_u32 s52, s48, s52
	s_addc_u32 s53, s49, s53
	s_ashr_i32 s51, s50, 31
	s_lshl_b64 s[50:51], s[50:51], 2
	v_mov_b32_e32 v17, s52
	s_add_u32 s38, s38, s50
	v_mov_b32_e32 v18, s53
	s_addc_u32 s39, s39, s51
	s_add_i32 s9, s3, -1
	flat_store_dwordx2 v[17:18], v[13:14]
	v_mov_b32_e32 v17, 0
	v_mov_b32_e32 v18, s9
	s_waitcnt vmcnt(0) lgkmcnt(0)
	global_atomic_inc v18, v17, v18, s[38:39] glc
	s_waitcnt vmcnt(0)
	v_cmp_eq_u32_e32 vcc, s9, v18
	v_cndmask_b32_e64 v18, 0, 1, vcc
	ds_write_b8 v17, v18 offset:385
.LBB2_60:
	s_or_b64 exec, exec, s[10:11]
	v_mov_b32_e32 v17, 0
	s_waitcnt lgkmcnt(0)
	s_barrier
	ds_read_u8 v17, v17 offset:385
	s_mov_b64 s[10:11], 0
	s_waitcnt lgkmcnt(0)
	v_cmp_eq_u32_e32 vcc, 0, v17
	v_mov_b32_e32 v18, v12
	v_mov_b32_e32 v17, v11
	s_cbranch_vccnz .LBB2_77
; %bb.61:
	v_mov_b32_e32 v17, s36
	v_cmp_gt_u32_e32 vcc, s3, v22
	v_mov_b32_e32 v18, s37
	s_and_saveexec_b64 s[38:39], vcc
	s_cbranch_execz .LBB2_65
; %bb.62:
	v_mov_b32_e32 v17, s36
	s_mov_b64 s[50:51], 0
	v_mov_b32_e32 v18, s37
	v_mov_b32_e32 v20, 0
	;; [unrolled: 1-line block ×4, first 2 shown]
.LBB2_63:                               ; =>This Inner Loop Header: Depth=1
	v_add_u32_e32 v19, s7, v26
	v_lshlrev_b64 v[27:28], 3, v[19:20]
	v_add_u32_e32 v26, s12, v26
	v_add_co_u32_e32 v27, vcc, s48, v27
	v_addc_co_u32_e32 v28, vcc, v25, v28, vcc
	flat_load_dwordx2 v[27:28], v[27:28] glc
	v_cmp_le_u32_e64 s[10:11], s3, v26
	s_or_b64 s[50:51], s[10:11], s[50:51]
	s_waitcnt vmcnt(0) lgkmcnt(0)
	v_cmp_gt_f64_e32 vcc, v[17:18], v[27:28]
	v_cndmask_b32_e32 v18, v18, v28, vcc
	v_cndmask_b32_e32 v17, v17, v27, vcc
	s_andn2_b64 exec, exec, s[50:51]
	s_cbranch_execnz .LBB2_63
; %bb.64:
	s_or_b64 exec, exec, s[50:51]
.LBB2_65:
	s_or_b64 exec, exec, s[38:39]
	s_andn2_b64 vcc, exec, s[44:45]
	s_cbranch_vccnz .LBB2_237
; %bb.66:
	v_and_b32_e32 v27, 64, v21
	v_xor_b32_e32 v25, 1, v22
	v_and_or_b32 v19, v25, 63, v27
	v_lshlrev_b32_e32 v19, 2, v19
	ds_bpermute_b32 v26, v19, v18
	ds_bpermute_b32 v19, v19, v17
	v_xor_b32_e32 v28, 2, v22
	v_cmp_gt_i32_e64 s[10:11], s12, v25
	v_xor_b32_e32 v30, 4, v22
	s_waitcnt lgkmcnt(1)
	v_mov_b32_e32 v20, v26
	s_waitcnt lgkmcnt(0)
	v_cmp_gt_f64_e32 vcc, v[17:18], v[19:20]
	v_and_or_b32 v20, v28, 63, v27
	v_lshlrev_b32_e32 v25, 2, v20
	s_and_b64 vcc, s[10:11], vcc
	v_cndmask_b32_e32 v20, v18, v26, vcc
	v_cndmask_b32_e32 v19, v17, v19, vcc
	ds_bpermute_b32 v29, v25, v20
	ds_bpermute_b32 v25, v25, v19
	v_cmp_gt_i32_e64 s[10:11], s12, v28
	s_waitcnt lgkmcnt(1)
	v_mov_b32_e32 v26, v29
	s_waitcnt lgkmcnt(0)
	v_cmp_gt_f64_e32 vcc, v[19:20], v[25:26]
	v_and_or_b32 v26, v30, 63, v27
	v_lshlrev_b32_e32 v26, 2, v26
	s_and_b64 vcc, s[10:11], vcc
	v_cndmask_b32_e32 v20, v20, v29, vcc
	v_cndmask_b32_e32 v19, v19, v25, vcc
	ds_bpermute_b32 v28, v26, v20
	ds_bpermute_b32 v25, v26, v19
	v_xor_b32_e32 v29, 8, v22
	v_cmp_gt_i32_e64 s[10:11], s12, v30
	v_xor_b32_e32 v30, 16, v22
	s_waitcnt lgkmcnt(1)
	v_mov_b32_e32 v26, v28
	s_waitcnt lgkmcnt(0)
	v_cmp_gt_f64_e32 vcc, v[19:20], v[25:26]
	v_and_or_b32 v26, v29, 63, v27
	v_lshlrev_b32_e32 v26, 2, v26
	s_and_b64 vcc, s[10:11], vcc
	v_cndmask_b32_e32 v20, v20, v28, vcc
	v_cndmask_b32_e32 v19, v19, v25, vcc
	ds_bpermute_b32 v28, v26, v20
	ds_bpermute_b32 v25, v26, v19
	v_cmp_gt_i32_e64 s[10:11], s12, v29
	v_xor_b32_e32 v29, 32, v22
	s_waitcnt lgkmcnt(1)
	v_mov_b32_e32 v26, v28
	s_waitcnt lgkmcnt(0)
	v_cmp_gt_f64_e32 vcc, v[19:20], v[25:26]
	v_and_or_b32 v26, v30, 63, v27
	v_lshlrev_b32_e32 v26, 2, v26
	s_and_b64 vcc, s[10:11], vcc
	v_cndmask_b32_e32 v20, v20, v28, vcc
	v_cndmask_b32_e32 v19, v19, v25, vcc
	ds_bpermute_b32 v28, v26, v20
	ds_bpermute_b32 v25, v26, v19
	v_cmp_gt_i32_e64 s[10:11], s12, v30
	s_waitcnt lgkmcnt(1)
	v_mov_b32_e32 v26, v28
	s_waitcnt lgkmcnt(0)
	v_cmp_gt_f64_e32 vcc, v[19:20], v[25:26]
	v_and_or_b32 v26, v29, 63, v27
	v_lshlrev_b32_e32 v26, 2, v26
	s_and_b64 vcc, s[10:11], vcc
	v_cndmask_b32_e32 v20, v20, v28, vcc
	v_cndmask_b32_e32 v19, v19, v25, vcc
	ds_bpermute_b32 v27, v26, v20
	ds_bpermute_b32 v25, v26, v19
	v_cmp_gt_i32_e64 s[10:11], s12, v29
	s_waitcnt lgkmcnt(1)
	v_mov_b32_e32 v26, v27
	s_waitcnt lgkmcnt(0)
	v_cmp_gt_f64_e32 vcc, v[19:20], v[25:26]
	s_and_b64 vcc, s[10:11], vcc
	v_cndmask_b32_e32 v20, v20, v27, vcc
	v_cndmask_b32_e32 v19, v19, v25, vcc
	s_cbranch_execnz .LBB2_68
.LBB2_67:
	v_and_b32_e32 v19, 64, v21
	v_add_u32_e32 v25, 64, v19
	v_xor_b32_e32 v19, 1, v21
	v_cmp_lt_i32_e32 vcc, v19, v25
	v_cndmask_b32_e32 v19, v21, v19, vcc
	v_lshlrev_b32_e32 v19, 2, v19
	ds_bpermute_b32 v26, v19, v18
	ds_bpermute_b32 v19, v19, v17
	s_waitcnt lgkmcnt(1)
	v_mov_b32_e32 v20, v26
	s_waitcnt lgkmcnt(0)
	v_cmp_gt_f64_e32 vcc, v[17:18], v[19:20]
	v_xor_b32_e32 v20, 2, v21
	v_cmp_lt_i32_e64 s[10:11], v20, v25
	v_cndmask_b32_e64 v20, v21, v20, s[10:11]
	v_lshlrev_b32_e32 v20, 2, v20
	v_cndmask_b32_e32 v18, v18, v26, vcc
	ds_bpermute_b32 v26, v20, v18
	v_cndmask_b32_e32 v17, v17, v19, vcc
	ds_bpermute_b32 v19, v20, v17
	s_waitcnt lgkmcnt(1)
	v_mov_b32_e32 v20, v26
	s_waitcnt lgkmcnt(0)
	v_cmp_gt_f64_e32 vcc, v[17:18], v[19:20]
	v_xor_b32_e32 v20, 4, v21
	v_cmp_lt_i32_e64 s[10:11], v20, v25
	v_cndmask_b32_e64 v20, v21, v20, s[10:11]
	v_lshlrev_b32_e32 v20, 2, v20
	v_cndmask_b32_e32 v18, v18, v26, vcc
	ds_bpermute_b32 v26, v20, v18
	v_cndmask_b32_e32 v17, v17, v19, vcc
	;; [unrolled: 12-line block ×4, first 2 shown]
	ds_bpermute_b32 v19, v20, v17
	s_waitcnt lgkmcnt(1)
	v_mov_b32_e32 v20, v26
	s_waitcnt lgkmcnt(0)
	v_cmp_gt_f64_e32 vcc, v[17:18], v[19:20]
	v_xor_b32_e32 v20, 32, v21
	v_cmp_lt_i32_e64 s[10:11], v20, v25
	v_cndmask_b32_e64 v20, v21, v20, s[10:11]
	v_lshlrev_b32_e32 v20, 2, v20
	v_cndmask_b32_e32 v18, v18, v26, vcc
	v_cndmask_b32_e32 v17, v17, v19, vcc
	ds_bpermute_b32 v25, v20, v18
	ds_bpermute_b32 v19, v20, v17
	s_waitcnt lgkmcnt(1)
	v_mov_b32_e32 v20, v25
	s_waitcnt lgkmcnt(0)
	v_cmp_gt_f64_e32 vcc, v[17:18], v[19:20]
	v_cndmask_b32_e32 v20, v18, v25, vcc
	v_cndmask_b32_e32 v19, v17, v19, vcc
.LBB2_68:
	s_andn2_b64 vcc, exec, s[46:47]
	s_cbranch_vccnz .LBB2_76
; %bb.69:
	v_cmp_eq_u32_e32 vcc, 0, v15
	s_and_saveexec_b64 s[10:11], vcc
; %bb.70:
	v_lshlrev_b32_e32 v17, 3, v24
	ds_write_b64 v17, v[19:20] offset:128
; %bb.71:
	s_or_b64 exec, exec, s[10:11]
	v_add_co_u32_e32 v17, vcc, 63, v22
	v_addc_co_u32_e32 v18, vcc, 0, v23, vcc
	s_mov_b64 s[10:11], 0x7f
	v_cmp_gt_u64_e32 vcc, s[10:11], v[17:18]
	s_waitcnt lgkmcnt(0)
	s_barrier
	s_and_saveexec_b64 s[38:39], vcc
	s_cbranch_execz .LBB2_75
; %bb.72:
	v_lshlrev_b64 v[16:17], 6, v[15:16]
	v_cmp_gt_i64_e32 vcc, s[12:13], v[16:17]
	v_mov_b32_e32 v16, s36
	v_mov_b32_e32 v17, s37
	s_and_saveexec_b64 s[10:11], vcc
; %bb.73:
	v_lshlrev_b32_e32 v15, 3, v15
	ds_read_b64 v[16:17], v15 offset:128
; %bb.74:
	s_or_b64 exec, exec, s[10:11]
	v_and_b32_e32 v15, 64, v21
	v_add_u32_e32 v15, 64, v15
	v_xor_b32_e32 v18, 1, v21
	v_cmp_lt_i32_e32 vcc, v18, v15
	v_cndmask_b32_e32 v18, v21, v18, vcc
	v_lshlrev_b32_e32 v18, 2, v18
	s_waitcnt lgkmcnt(0)
	ds_bpermute_b32 v20, v18, v17
	ds_bpermute_b32 v18, v18, v16
	s_waitcnt lgkmcnt(1)
	v_mov_b32_e32 v19, v20
	s_waitcnt lgkmcnt(0)
	v_cmp_gt_f64_e32 vcc, v[16:17], v[18:19]
	v_xor_b32_e32 v19, 2, v21
	v_cmp_lt_i32_e64 s[10:11], v19, v15
	v_cndmask_b32_e64 v19, v21, v19, s[10:11]
	v_lshlrev_b32_e32 v19, 2, v19
	v_cndmask_b32_e32 v17, v17, v20, vcc
	ds_bpermute_b32 v20, v19, v17
	v_cndmask_b32_e32 v16, v16, v18, vcc
	ds_bpermute_b32 v18, v19, v16
	s_waitcnt lgkmcnt(1)
	v_mov_b32_e32 v19, v20
	s_waitcnt lgkmcnt(0)
	v_cmp_gt_f64_e32 vcc, v[16:17], v[18:19]
	v_xor_b32_e32 v19, 4, v21
	v_cmp_lt_i32_e64 s[10:11], v19, v15
	v_cndmask_b32_e64 v19, v21, v19, s[10:11]
	v_lshlrev_b32_e32 v19, 2, v19
	v_cndmask_b32_e32 v17, v17, v20, vcc
	ds_bpermute_b32 v20, v19, v17
	v_cndmask_b32_e32 v16, v16, v18, vcc
	ds_bpermute_b32 v18, v19, v16
	s_waitcnt lgkmcnt(1)
	v_mov_b32_e32 v19, v20
	s_waitcnt lgkmcnt(0)
	v_cmp_gt_f64_e32 vcc, v[16:17], v[18:19]
	v_xor_b32_e32 v19, 8, v21
	v_cmp_lt_i32_e64 s[10:11], v19, v15
	v_cndmask_b32_e64 v15, v21, v19, s[10:11]
	v_lshlrev_b32_e32 v15, 2, v15
	v_cndmask_b32_e32 v17, v17, v20, vcc
	v_cndmask_b32_e32 v16, v16, v18, vcc
	ds_bpermute_b32 v20, v15, v17
	ds_bpermute_b32 v18, v15, v16
	s_waitcnt lgkmcnt(1)
	v_mov_b32_e32 v19, v20
	s_waitcnt lgkmcnt(0)
	v_cmp_gt_f64_e32 vcc, v[16:17], v[18:19]
	v_cndmask_b32_e32 v20, v17, v20, vcc
	v_cndmask_b32_e32 v19, v16, v18, vcc
.LBB2_75:
	s_or_b64 exec, exec, s[38:39]
	s_barrier
.LBB2_76:
	v_mov_b32_e32 v15, 0
	ds_read_u8 v15, v15 offset:385
	v_cndmask_b32_e64 v18, v12, v20, s[0:1]
	v_cndmask_b32_e64 v17, v11, v19, s[0:1]
	s_waitcnt lgkmcnt(0)
	v_and_b32_e32 v15, 1, v15
	v_cmp_eq_u32_e64 s[10:11], 1, v15
.LBB2_77:
	s_and_b64 s[10:11], s[0:1], s[10:11]
	s_branch .LBB2_80
.LBB2_78:
                                        ; implicit-def: $sgpr10_sgpr11
                                        ; implicit-def: $vgpr17_vgpr18
	s_cbranch_execz .LBB2_80
; %bb.79:
	v_cndmask_b32_e64 v18, v12, v14, s[0:1]
	v_cndmask_b32_e64 v17, v11, v13, s[0:1]
	s_andn2_b64 s[10:11], s[10:11], exec
	s_and_b64 s[0:1], s[0:1], exec
	s_or_b64 s[10:11], s[10:11], s[0:1]
.LBB2_80:
	s_and_saveexec_b64 s[0:1], s[10:11]
	s_cbranch_execz .LBB2_82
; %bb.81:
	s_ashr_i32 s35, s34, 31
	s_lshl_b64 s[10:11], s[34:35], 3
	s_add_u32 s10, s14, s10
	s_addc_u32 s11, s15, s11
	v_mov_b32_e32 v12, s11
	v_mov_b32_e32 v11, s10
	flat_store_dwordx2 v[11:12], v[17:18]
.LBB2_82:
	s_or_b64 exec, exec, s[0:1]
	s_load_dwordx4 s[36:39], s[4:5], 0x78
	s_cmp_lg_u64 s[40:41], 0
	s_cbranch_scc1 .LBB2_4
.LBB2_83:
	s_load_dwordx2 s[0:1], s[4:5], 0x178
	s_add_u32 s3, s4, 0x178
	v_mov_b32_e32 v11, 0
	s_addc_u32 s7, s5, 0
	global_load_dword v12, v11, s[4:5] offset:390
	s_waitcnt lgkmcnt(0)
	s_cmp_lt_u32 s6, s0
	s_cselect_b32 s9, 12, 18
	s_add_u32 s10, s3, s9
	s_addc_u32 s11, s7, 0
	global_load_ushort v11, v11, s[10:11]
	v_mbcnt_lo_u32_b32 v13, -1, 0
	v_mbcnt_hi_u32_b32 v19, -1, v13
	s_waitcnt vmcnt(0)
	v_readfirstlane_b32 s3, v12
	s_lshr_b32 s7, s3, 16
	s_and_b32 s3, s3, 0xffff
	v_readfirstlane_b32 s9, v11
	s_mul_i32 s3, s3, s9
	v_mul_u32_u24_e32 v12, v1, v11
	v_mul_lo_u32 v11, s3, v2
	s_mul_i32 s10, s3, s7
	s_ashr_i32 s11, s10, 31
	s_and_b32 s3, s10, 63
	s_cmp_lg_u32 s3, 0
	s_cselect_b64 s[14:15], -1, 0
	s_cmp_eq_u32 s3, 0
	v_add3_u32 v20, v12, v0, v11
	s_cbranch_scc1 .LBB2_232
; %bb.84:
	v_and_b32_e32 v15, 64, v19
	v_xor_b32_e32 v13, 1, v20
	v_and_or_b32 v11, v13, 63, v15
	v_lshlrev_b32_e32 v12, 2, v11
	ds_bpermute_b32 v11, v12, v9
	ds_bpermute_b32 v12, v12, v10
	v_xor_b32_e32 v16, 2, v20
	v_and_or_b32 v14, v16, 63, v15
	v_cmp_gt_i32_e32 vcc, s10, v13
	v_lshlrev_b32_e32 v14, 2, v14
	s_waitcnt lgkmcnt(0)
	v_add_f64 v[11:12], v[9:10], v[11:12]
	v_xor_b32_e32 v17, 4, v20
	v_and_or_b32 v18, v17, 63, v15
	v_lshlrev_b32_e32 v18, 2, v18
	v_cndmask_b32_e32 v12, v10, v12, vcc
	v_cndmask_b32_e32 v11, v9, v11, vcc
	ds_bpermute_b32 v13, v14, v11
	ds_bpermute_b32 v14, v14, v12
	v_cmp_gt_i32_e32 vcc, s10, v16
	v_xor_b32_e32 v16, 8, v20
	s_waitcnt lgkmcnt(0)
	v_add_f64 v[13:14], v[11:12], v[13:14]
	v_cndmask_b32_e32 v12, v12, v14, vcc
	v_cndmask_b32_e32 v11, v11, v13, vcc
	ds_bpermute_b32 v13, v18, v11
	ds_bpermute_b32 v14, v18, v12
	v_and_or_b32 v18, v16, 63, v15
	v_cmp_gt_i32_e32 vcc, s10, v17
	v_lshlrev_b32_e32 v18, 2, v18
	v_xor_b32_e32 v17, 16, v20
	s_waitcnt lgkmcnt(0)
	v_add_f64 v[13:14], v[11:12], v[13:14]
	v_cndmask_b32_e32 v12, v12, v14, vcc
	v_cndmask_b32_e32 v11, v11, v13, vcc
	ds_bpermute_b32 v13, v18, v11
	ds_bpermute_b32 v14, v18, v12
	v_and_or_b32 v18, v17, 63, v15
	v_cmp_gt_i32_e32 vcc, s10, v16
	v_lshlrev_b32_e32 v18, 2, v18
	v_xor_b32_e32 v16, 32, v20
	s_waitcnt lgkmcnt(0)
	v_add_f64 v[13:14], v[11:12], v[13:14]
	v_and_or_b32 v15, v16, 63, v15
	v_lshlrev_b32_e32 v15, 2, v15
	v_cndmask_b32_e32 v12, v12, v14, vcc
	v_cndmask_b32_e32 v11, v11, v13, vcc
	ds_bpermute_b32 v13, v18, v11
	ds_bpermute_b32 v14, v18, v12
	v_cmp_gt_i32_e32 vcc, s10, v17
	s_waitcnt lgkmcnt(0)
	v_add_f64 v[13:14], v[11:12], v[13:14]
	v_cndmask_b32_e32 v12, v12, v14, vcc
	v_cndmask_b32_e32 v11, v11, v13, vcc
	ds_bpermute_b32 v13, v15, v11
	ds_bpermute_b32 v14, v15, v12
	v_cmp_gt_i32_e32 vcc, s10, v16
	s_waitcnt lgkmcnt(0)
	v_add_f64 v[13:14], v[11:12], v[13:14]
	v_cndmask_b32_e32 v12, v12, v14, vcc
	v_cndmask_b32_e32 v11, v11, v13, vcc
	s_load_dwordx2 s[40:41], s[4:5], 0xd8
	s_cbranch_execnz .LBB2_86
.LBB2_85:
	v_and_b32_e32 v11, 64, v19
	v_add_u32_e32 v15, 64, v11
	v_xor_b32_e32 v11, 1, v19
	v_cmp_lt_i32_e32 vcc, v11, v15
	v_cndmask_b32_e32 v11, v19, v11, vcc
	v_lshlrev_b32_e32 v12, 2, v11
	ds_bpermute_b32 v11, v12, v9
	ds_bpermute_b32 v12, v12, v10
	v_xor_b32_e32 v13, 2, v19
	v_cmp_lt_i32_e32 vcc, v13, v15
	v_cndmask_b32_e32 v13, v19, v13, vcc
	v_lshlrev_b32_e32 v14, 2, v13
	s_waitcnt lgkmcnt(0)
	v_add_f64 v[11:12], v[9:10], v[11:12]
	ds_bpermute_b32 v13, v14, v11
	ds_bpermute_b32 v14, v14, v12
	s_waitcnt lgkmcnt(0)
	v_add_f64 v[11:12], v[11:12], v[13:14]
	v_xor_b32_e32 v13, 4, v19
	v_cmp_lt_i32_e32 vcc, v13, v15
	v_cndmask_b32_e32 v13, v19, v13, vcc
	v_lshlrev_b32_e32 v14, 2, v13
	ds_bpermute_b32 v13, v14, v11
	ds_bpermute_b32 v14, v14, v12
	s_waitcnt lgkmcnt(0)
	v_add_f64 v[11:12], v[11:12], v[13:14]
	v_xor_b32_e32 v13, 8, v19
	v_cmp_lt_i32_e32 vcc, v13, v15
	v_cndmask_b32_e32 v13, v19, v13, vcc
	v_lshlrev_b32_e32 v14, 2, v13
	;; [unrolled: 8-line block ×4, first 2 shown]
	ds_bpermute_b32 v13, v14, v11
	ds_bpermute_b32 v14, v14, v12
	s_waitcnt lgkmcnt(0)
	v_add_f64 v[11:12], v[11:12], v[13:14]
.LBB2_86:
	v_ashrrev_i32_e32 v21, 31, v20
	s_load_dword s3, s[4:5], 0x180
	v_lshrrev_b32_e32 v13, 26, v21
	v_add_u32_e32 v13, v20, v13
	v_ashrrev_i32_e32 v22, 6, v13
	v_and_b32_e32 v13, 0xffffffc0, v13
	v_sub_u32_e32 v13, v20, v13
	s_cmp_gt_i32 s10, 64
	s_cselect_b64 s[34:35], -1, 0
	s_cmpk_lt_i32 s10, 0x41
	v_ashrrev_i32_e32 v14, 31, v13
	s_cbranch_scc1 .LBB2_94
; %bb.87:
	v_cmp_eq_u32_e32 vcc, 0, v13
	s_and_saveexec_b64 s[12:13], vcc
; %bb.88:
	v_lshlrev_b32_e32 v15, 3, v22
	ds_write_b64 v15, v[11:12] offset:256
; %bb.89:
	s_or_b64 exec, exec, s[12:13]
	v_add_co_u32_e32 v15, vcc, 63, v20
	v_addc_co_u32_e32 v16, vcc, 0, v21, vcc
	s_mov_b64 s[12:13], 0x7f
	v_cmp_gt_u64_e32 vcc, s[12:13], v[15:16]
	s_waitcnt lgkmcnt(0)
	s_barrier
	s_and_saveexec_b64 s[12:13], vcc
	s_cbranch_execz .LBB2_93
; %bb.90:
	v_lshlrev_b64 v[11:12], 6, v[13:14]
	v_cmp_gt_i64_e32 vcc, s[10:11], v[11:12]
	v_mov_b32_e32 v11, s28
	v_mov_b32_e32 v12, s29
	s_and_saveexec_b64 s[44:45], vcc
; %bb.91:
	v_lshlrev_b32_e32 v11, 3, v13
	ds_read_b64 v[11:12], v11 offset:256
; %bb.92:
	s_or_b64 exec, exec, s[44:45]
	v_and_b32_e32 v15, 64, v19
	v_add_u32_e32 v17, 64, v15
	v_xor_b32_e32 v15, 1, v19
	v_cmp_lt_i32_e32 vcc, v15, v17
	v_cndmask_b32_e32 v15, v19, v15, vcc
	v_lshlrev_b32_e32 v16, 2, v15
	s_waitcnt lgkmcnt(0)
	ds_bpermute_b32 v15, v16, v11
	ds_bpermute_b32 v16, v16, v12
	s_waitcnt lgkmcnt(0)
	v_add_f64 v[11:12], v[11:12], v[15:16]
	v_xor_b32_e32 v15, 2, v19
	v_cmp_lt_i32_e32 vcc, v15, v17
	v_cndmask_b32_e32 v15, v19, v15, vcc
	v_lshlrev_b32_e32 v16, 2, v15
	ds_bpermute_b32 v15, v16, v11
	ds_bpermute_b32 v16, v16, v12
	s_waitcnt lgkmcnt(0)
	v_add_f64 v[11:12], v[11:12], v[15:16]
	v_xor_b32_e32 v15, 4, v19
	v_cmp_lt_i32_e32 vcc, v15, v17
	v_cndmask_b32_e32 v15, v19, v15, vcc
	v_lshlrev_b32_e32 v16, 2, v15
	;; [unrolled: 8-line block ×3, first 2 shown]
	ds_bpermute_b32 v15, v16, v11
	ds_bpermute_b32 v16, v16, v12
	s_waitcnt lgkmcnt(0)
	v_add_f64 v[11:12], v[11:12], v[15:16]
.LBB2_93:
	s_or_b64 exec, exec, s[12:13]
	s_barrier
.LBB2_94:
	s_mul_i32 s7, s0, s2
	s_mul_i32 s0, s1, s0
	s_add_i32 s7, s7, s6
	s_mul_i32 s1, s0, s8
	s_add_i32 s1, s7, s1
	s_waitcnt lgkmcnt(0)
	s_mul_i32 s7, s3, s0
	s_ashr_i32 s0, s1, 31
	s_lshr_b32 s0, s0, 27
	s_add_i32 s9, s1, s0
	s_and_b32 s0, s9, 0xffffffe0
	s_sub_i32 s12, s1, s0
	s_ashr_i32 s0, s7, 31
	s_lshr_b32 s0, s0, 27
	s_add_i32 s0, s7, s0
	s_ashr_i32 s3, s0, 5
	s_andn2_b32 s0, s0, 31
	s_sub_i32 s0, s7, s0
	s_cmp_lt_i32 s12, s0
	s_cselect_b64 s[0:1], -1, 0
	s_cmp_lg_u64 s[0:1], 0
	s_addc_u32 s3, s3, 0
	s_cmp_gt_u32 s3, 1
	v_cmp_eq_u32_e64 s[0:1], 0, v20
	s_cbranch_scc0 .LBB2_115
; %bb.95:
	s_add_i32 s7, s7, 31
	s_ashr_i32 s13, s7, 31
	s_lshr_b32 s13, s13, 27
	s_add_i32 s7, s7, s13
	s_ashr_i32 s7, s7, 5
	s_mul_i32 s7, s7, s12
	s_and_saveexec_b64 s[44:45], s[0:1]
	s_cbranch_execz .LBB2_97
; %bb.96:
	s_ashr_i32 s9, s9, 5
	s_add_i32 s48, s7, s9
	s_ashr_i32 s49, s48, 31
	s_lshl_b32 s46, s12, 3
	s_lshl_b64 s[48:49], s[48:49], 3
	s_add_u32 s48, s40, s48
	s_addc_u32 s49, s41, s49
	s_ashr_i32 s47, s46, 31
	s_lshl_b64 s[46:47], s[46:47], 2
	v_mov_b32_e32 v15, s48
	s_add_u32 s30, s30, s46
	v_mov_b32_e32 v16, s49
	s_addc_u32 s31, s31, s47
	s_add_i32 s9, s3, -1
	flat_store_dwordx2 v[15:16], v[11:12]
	v_mov_b32_e32 v15, 0
	v_mov_b32_e32 v16, s9
	s_waitcnt vmcnt(0) lgkmcnt(0)
	global_atomic_inc v16, v15, v16, s[30:31] glc
	s_waitcnt vmcnt(0)
	v_cmp_eq_u32_e32 vcc, s9, v16
	v_cndmask_b32_e64 v16, 0, 1, vcc
	ds_write_b8 v15, v16 offset:386
.LBB2_97:
	s_or_b64 exec, exec, s[44:45]
	v_mov_b32_e32 v15, 0
	s_waitcnt lgkmcnt(0)
	s_barrier
	ds_read_u8 v15, v15 offset:386
	s_mov_b64 s[30:31], 0
	s_waitcnt lgkmcnt(0)
	v_cmp_eq_u32_e32 vcc, 0, v15
	v_mov_b32_e32 v16, v10
	v_mov_b32_e32 v15, v9
	s_cbranch_vccnz .LBB2_114
; %bb.98:
	v_mov_b32_e32 v15, s28
	v_cmp_gt_u32_e32 vcc, s3, v20
	v_mov_b32_e32 v16, s29
	s_and_saveexec_b64 s[30:31], vcc
	s_cbranch_execz .LBB2_102
; %bb.99:
	v_mov_b32_e32 v15, s28
	s_mov_b64 s[44:45], 0
	v_mov_b32_e32 v16, s29
	v_mov_b32_e32 v18, 0
	;; [unrolled: 1-line block ×4, first 2 shown]
.LBB2_100:                              ; =>This Inner Loop Header: Depth=1
	v_add_u32_e32 v17, s7, v24
	v_lshlrev_b64 v[25:26], 3, v[17:18]
	v_add_u32_e32 v24, s10, v24
	v_add_co_u32_e32 v25, vcc, s40, v25
	v_addc_co_u32_e32 v26, vcc, v23, v26, vcc
	flat_load_dwordx2 v[25:26], v[25:26] glc
	v_cmp_le_u32_e32 vcc, s3, v24
	s_or_b64 s[44:45], vcc, s[44:45]
	s_waitcnt vmcnt(0) lgkmcnt(0)
	v_add_f64 v[15:16], v[15:16], v[25:26]
	s_andn2_b64 exec, exec, s[44:45]
	s_cbranch_execnz .LBB2_100
; %bb.101:
	s_or_b64 exec, exec, s[44:45]
.LBB2_102:
	s_or_b64 exec, exec, s[30:31]
	s_andn2_b64 vcc, exec, s[14:15]
	s_cbranch_vccnz .LBB2_238
; %bb.103:
	v_and_b32_e32 v25, 64, v19
	v_xor_b32_e32 v23, 1, v20
	v_and_or_b32 v17, v23, 63, v25
	v_lshlrev_b32_e32 v18, 2, v17
	ds_bpermute_b32 v17, v18, v15
	ds_bpermute_b32 v18, v18, v16
	v_xor_b32_e32 v26, 2, v20
	v_and_or_b32 v24, v26, 63, v25
	v_cmp_gt_i32_e32 vcc, s10, v23
	v_lshlrev_b32_e32 v24, 2, v24
	s_waitcnt lgkmcnt(0)
	v_add_f64 v[17:18], v[15:16], v[17:18]
	v_xor_b32_e32 v27, 4, v20
	v_and_or_b32 v28, v27, 63, v25
	v_lshlrev_b32_e32 v28, 2, v28
	v_cndmask_b32_e32 v18, v16, v18, vcc
	v_cndmask_b32_e32 v17, v15, v17, vcc
	ds_bpermute_b32 v23, v24, v17
	ds_bpermute_b32 v24, v24, v18
	v_cmp_gt_i32_e32 vcc, s10, v26
	v_xor_b32_e32 v26, 8, v20
	s_waitcnt lgkmcnt(0)
	v_add_f64 v[23:24], v[17:18], v[23:24]
	v_cndmask_b32_e32 v18, v18, v24, vcc
	v_cndmask_b32_e32 v17, v17, v23, vcc
	ds_bpermute_b32 v23, v28, v17
	ds_bpermute_b32 v24, v28, v18
	v_and_or_b32 v28, v26, 63, v25
	v_cmp_gt_i32_e32 vcc, s10, v27
	v_lshlrev_b32_e32 v28, 2, v28
	v_xor_b32_e32 v27, 16, v20
	s_waitcnt lgkmcnt(0)
	v_add_f64 v[23:24], v[17:18], v[23:24]
	v_cndmask_b32_e32 v18, v18, v24, vcc
	v_cndmask_b32_e32 v17, v17, v23, vcc
	ds_bpermute_b32 v23, v28, v17
	ds_bpermute_b32 v24, v28, v18
	v_and_or_b32 v28, v27, 63, v25
	v_cmp_gt_i32_e32 vcc, s10, v26
	v_lshlrev_b32_e32 v28, 2, v28
	v_xor_b32_e32 v26, 32, v20
	s_waitcnt lgkmcnt(0)
	v_add_f64 v[23:24], v[17:18], v[23:24]
	v_and_or_b32 v25, v26, 63, v25
	v_lshlrev_b32_e32 v25, 2, v25
	v_cndmask_b32_e32 v18, v18, v24, vcc
	v_cndmask_b32_e32 v17, v17, v23, vcc
	ds_bpermute_b32 v23, v28, v17
	ds_bpermute_b32 v24, v28, v18
	v_cmp_gt_i32_e32 vcc, s10, v27
	s_waitcnt lgkmcnt(0)
	v_add_f64 v[23:24], v[17:18], v[23:24]
	v_cndmask_b32_e32 v18, v18, v24, vcc
	v_cndmask_b32_e32 v17, v17, v23, vcc
	ds_bpermute_b32 v23, v25, v17
	ds_bpermute_b32 v24, v25, v18
	v_cmp_gt_i32_e32 vcc, s10, v26
	s_waitcnt lgkmcnt(0)
	v_add_f64 v[23:24], v[17:18], v[23:24]
	v_cndmask_b32_e32 v18, v18, v24, vcc
	v_cndmask_b32_e32 v17, v17, v23, vcc
	s_cbranch_execnz .LBB2_105
.LBB2_104:
	v_and_b32_e32 v17, 64, v19
	v_add_u32_e32 v23, 64, v17
	v_xor_b32_e32 v17, 1, v19
	v_cmp_lt_i32_e32 vcc, v17, v23
	v_cndmask_b32_e32 v17, v19, v17, vcc
	v_lshlrev_b32_e32 v18, 2, v17
	ds_bpermute_b32 v17, v18, v15
	ds_bpermute_b32 v18, v18, v16
	s_waitcnt lgkmcnt(0)
	v_add_f64 v[15:16], v[15:16], v[17:18]
	v_xor_b32_e32 v17, 2, v19
	v_cmp_lt_i32_e32 vcc, v17, v23
	v_cndmask_b32_e32 v17, v19, v17, vcc
	v_lshlrev_b32_e32 v18, 2, v17
	ds_bpermute_b32 v17, v18, v15
	ds_bpermute_b32 v18, v18, v16
	s_waitcnt lgkmcnt(0)
	v_add_f64 v[15:16], v[15:16], v[17:18]
	;; [unrolled: 8-line block ×6, first 2 shown]
.LBB2_105:
	s_andn2_b64 vcc, exec, s[34:35]
	s_cbranch_vccnz .LBB2_113
; %bb.106:
	v_cmp_eq_u32_e32 vcc, 0, v13
	s_and_saveexec_b64 s[14:15], vcc
; %bb.107:
	v_lshlrev_b32_e32 v15, 3, v22
	ds_write_b64 v15, v[17:18] offset:256
; %bb.108:
	s_or_b64 exec, exec, s[14:15]
	v_add_co_u32_e32 v15, vcc, 63, v20
	v_addc_co_u32_e32 v16, vcc, 0, v21, vcc
	s_mov_b64 s[14:15], 0x7f
	v_cmp_gt_u64_e32 vcc, s[14:15], v[15:16]
	s_waitcnt lgkmcnt(0)
	s_barrier
	s_and_saveexec_b64 s[14:15], vcc
	s_cbranch_execz .LBB2_112
; %bb.109:
	v_lshlrev_b64 v[14:15], 6, v[13:14]
	v_cmp_gt_i64_e32 vcc, s[10:11], v[14:15]
	v_mov_b32_e32 v14, s28
	v_mov_b32_e32 v15, s29
	s_and_saveexec_b64 s[10:11], vcc
; %bb.110:
	v_lshlrev_b32_e32 v13, 3, v13
	ds_read_b64 v[14:15], v13 offset:256
; %bb.111:
	s_or_b64 exec, exec, s[10:11]
	v_and_b32_e32 v13, 64, v19
	v_add_u32_e32 v18, 64, v13
	v_xor_b32_e32 v13, 1, v19
	v_cmp_lt_i32_e32 vcc, v13, v18
	v_cndmask_b32_e32 v13, v19, v13, vcc
	v_lshlrev_b32_e32 v13, 2, v13
	s_waitcnt lgkmcnt(0)
	ds_bpermute_b32 v16, v13, v14
	ds_bpermute_b32 v17, v13, v15
	s_waitcnt lgkmcnt(0)
	v_add_f64 v[13:14], v[14:15], v[16:17]
	v_xor_b32_e32 v15, 2, v19
	v_cmp_lt_i32_e32 vcc, v15, v18
	v_cndmask_b32_e32 v15, v19, v15, vcc
	v_lshlrev_b32_e32 v16, 2, v15
	ds_bpermute_b32 v15, v16, v13
	ds_bpermute_b32 v16, v16, v14
	s_waitcnt lgkmcnt(0)
	v_add_f64 v[13:14], v[13:14], v[15:16]
	v_xor_b32_e32 v15, 4, v19
	v_cmp_lt_i32_e32 vcc, v15, v18
	v_cndmask_b32_e32 v15, v19, v15, vcc
	v_lshlrev_b32_e32 v16, 2, v15
	;; [unrolled: 8-line block ×3, first 2 shown]
	ds_bpermute_b32 v15, v16, v13
	ds_bpermute_b32 v16, v16, v14
	s_waitcnt lgkmcnt(0)
	v_add_f64 v[17:18], v[13:14], v[15:16]
.LBB2_112:
	s_or_b64 exec, exec, s[14:15]
	s_barrier
.LBB2_113:
	v_mov_b32_e32 v13, 0
	ds_read_u8 v13, v13 offset:386
	v_cndmask_b32_e64 v16, v10, v18, s[0:1]
	v_cndmask_b32_e64 v15, v9, v17, s[0:1]
	s_waitcnt lgkmcnt(0)
	v_and_b32_e32 v13, 1, v13
	v_cmp_eq_u32_e64 s[30:31], 1, v13
.LBB2_114:
	s_and_b64 s[10:11], s[0:1], s[30:31]
	s_branch .LBB2_117
.LBB2_115:
                                        ; implicit-def: $sgpr10_sgpr11
                                        ; implicit-def: $vgpr15_vgpr16
	s_cbranch_execz .LBB2_117
; %bb.116:
	v_cndmask_b32_e64 v16, v10, v12, s[0:1]
	v_cndmask_b32_e64 v15, v9, v11, s[0:1]
	s_andn2_b64 s[10:11], s[10:11], exec
	s_and_b64 s[0:1], s[0:1], exec
	s_or_b64 s[10:11], s[10:11], s[0:1]
.LBB2_117:
	s_and_saveexec_b64 s[0:1], s[10:11]
	s_cbranch_execz .LBB2_119
; %bb.118:
	s_ashr_i32 s13, s12, 31
	s_lshl_b64 s[10:11], s[12:13], 3
	s_add_u32 s10, s42, s10
	s_addc_u32 s11, s43, s11
	v_mov_b32_e32 v9, s10
	v_mov_b32_e32 v10, s11
	flat_store_dwordx2 v[9:10], v[15:16]
.LBB2_119:
	s_or_b64 exec, exec, s[0:1]
	s_load_dwordx4 s[12:15], s[4:5], 0x40
	s_cmp_lg_u64 s[36:37], 0
	s_cbranch_scc1 .LBB2_5
.LBB2_120:
	s_load_dwordx2 s[10:11], s[4:5], 0x178
	s_add_u32 s0, s4, 0x178
	v_mov_b32_e32 v9, 0
	s_addc_u32 s1, s5, 0
	global_load_dword v10, v9, s[4:5] offset:390
	s_waitcnt lgkmcnt(0)
	s_cmp_lt_u32 s6, s10
	s_cselect_b32 s3, 12, 18
	s_add_u32 s0, s0, s3
	s_addc_u32 s1, s1, 0
	global_load_ushort v9, v9, s[0:1]
	v_mbcnt_lo_u32_b32 v11, -1, 0
	v_mbcnt_hi_u32_b32 v17, -1, v11
	s_waitcnt vmcnt(0)
	v_readfirstlane_b32 s0, v10
	s_lshr_b32 s1, s0, 16
	s_and_b32 s0, s0, 0xffff
	v_readfirstlane_b32 s3, v9
	s_mul_i32 s0, s0, s3
	v_mul_u32_u24_e32 v10, v1, v9
	v_mul_lo_u32 v9, s0, v2
	s_mul_i32 s28, s0, s1
	s_ashr_i32 s29, s28, 31
	s_and_b32 s0, s28, 63
	s_cmp_lg_u32 s0, 0
	s_cselect_b64 s[34:35], -1, 0
	s_cmp_eq_u32 s0, 0
	v_add3_u32 v18, v10, v0, v9
	s_cbranch_scc1 .LBB2_233
; %bb.121:
	v_and_b32_e32 v13, 64, v17
	v_xor_b32_e32 v11, 1, v18
	v_and_or_b32 v9, v11, 63, v13
	v_lshlrev_b32_e32 v9, 2, v9
	ds_bpermute_b32 v12, v9, v8
	ds_bpermute_b32 v9, v9, v7
	v_xor_b32_e32 v14, 2, v18
	v_cmp_gt_i32_e64 s[0:1], s28, v11
	v_xor_b32_e32 v16, 4, v18
	s_waitcnt lgkmcnt(1)
	v_mov_b32_e32 v10, v12
	s_waitcnt lgkmcnt(0)
	v_cmp_lt_f64_e32 vcc, v[7:8], v[9:10]
	v_and_or_b32 v10, v14, 63, v13
	v_lshlrev_b32_e32 v11, 2, v10
	s_and_b64 vcc, s[0:1], vcc
	v_cndmask_b32_e32 v10, v8, v12, vcc
	v_cndmask_b32_e32 v9, v7, v9, vcc
	ds_bpermute_b32 v15, v11, v10
	ds_bpermute_b32 v11, v11, v9
	v_cmp_gt_i32_e64 s[0:1], s28, v14
	s_waitcnt lgkmcnt(1)
	v_mov_b32_e32 v12, v15
	s_waitcnt lgkmcnt(0)
	v_cmp_lt_f64_e32 vcc, v[9:10], v[11:12]
	v_and_or_b32 v12, v16, 63, v13
	v_lshlrev_b32_e32 v12, 2, v12
	s_and_b64 vcc, s[0:1], vcc
	v_cndmask_b32_e32 v10, v10, v15, vcc
	v_cndmask_b32_e32 v9, v9, v11, vcc
	ds_bpermute_b32 v14, v12, v10
	ds_bpermute_b32 v11, v12, v9
	v_xor_b32_e32 v15, 8, v18
	v_cmp_gt_i32_e64 s[0:1], s28, v16
	v_xor_b32_e32 v16, 16, v18
	s_waitcnt lgkmcnt(1)
	v_mov_b32_e32 v12, v14
	s_waitcnt lgkmcnt(0)
	v_cmp_lt_f64_e32 vcc, v[9:10], v[11:12]
	v_and_or_b32 v12, v15, 63, v13
	v_lshlrev_b32_e32 v12, 2, v12
	s_and_b64 vcc, s[0:1], vcc
	v_cndmask_b32_e32 v10, v10, v14, vcc
	v_cndmask_b32_e32 v9, v9, v11, vcc
	ds_bpermute_b32 v14, v12, v10
	ds_bpermute_b32 v11, v12, v9
	v_cmp_gt_i32_e64 s[0:1], s28, v15
	v_xor_b32_e32 v15, 32, v18
	s_waitcnt lgkmcnt(1)
	v_mov_b32_e32 v12, v14
	s_waitcnt lgkmcnt(0)
	v_cmp_lt_f64_e32 vcc, v[9:10], v[11:12]
	v_and_or_b32 v12, v16, 63, v13
	v_lshlrev_b32_e32 v12, 2, v12
	s_and_b64 vcc, s[0:1], vcc
	v_cndmask_b32_e32 v10, v10, v14, vcc
	v_cndmask_b32_e32 v9, v9, v11, vcc
	ds_bpermute_b32 v14, v12, v10
	ds_bpermute_b32 v11, v12, v9
	v_cmp_gt_i32_e64 s[0:1], s28, v16
	s_waitcnt lgkmcnt(1)
	v_mov_b32_e32 v12, v14
	s_waitcnt lgkmcnt(0)
	v_cmp_lt_f64_e32 vcc, v[9:10], v[11:12]
	v_and_or_b32 v12, v15, 63, v13
	v_lshlrev_b32_e32 v12, 2, v12
	s_and_b64 vcc, s[0:1], vcc
	v_cndmask_b32_e32 v10, v10, v14, vcc
	v_cndmask_b32_e32 v9, v9, v11, vcc
	ds_bpermute_b32 v13, v12, v10
	ds_bpermute_b32 v11, v12, v9
	v_cmp_gt_i32_e64 s[0:1], s28, v15
	s_waitcnt lgkmcnt(1)
	v_mov_b32_e32 v12, v13
	s_waitcnt lgkmcnt(0)
	v_cmp_lt_f64_e32 vcc, v[9:10], v[11:12]
	s_and_b64 vcc, s[0:1], vcc
	v_cndmask_b32_e32 v10, v10, v13, vcc
	v_cndmask_b32_e32 v9, v9, v11, vcc
	s_load_dwordx2 s[40:41], s[4:5], 0xa0
	s_cbranch_execnz .LBB2_123
.LBB2_122:
	v_and_b32_e32 v9, 64, v17
	v_add_u32_e32 v13, 64, v9
	v_xor_b32_e32 v9, 1, v17
	v_cmp_lt_i32_e32 vcc, v9, v13
	v_cndmask_b32_e32 v9, v17, v9, vcc
	v_lshlrev_b32_e32 v9, 2, v9
	ds_bpermute_b32 v11, v9, v8
	ds_bpermute_b32 v9, v9, v7
	s_waitcnt lgkmcnt(0)
	v_mov_b32_e32 v10, v11
	v_cmp_lt_f64_e32 vcc, v[7:8], v[9:10]
	v_xor_b32_e32 v10, 2, v17
	v_cmp_lt_i32_e64 s[0:1], v10, v13
	v_cndmask_b32_e64 v10, v17, v10, s[0:1]
	v_lshlrev_b32_e32 v12, 2, v10
	v_cndmask_b32_e32 v10, v8, v11, vcc
	ds_bpermute_b32 v14, v12, v10
	v_cndmask_b32_e32 v9, v7, v9, vcc
	ds_bpermute_b32 v11, v12, v9
	s_waitcnt lgkmcnt(1)
	v_mov_b32_e32 v12, v14
	s_waitcnt lgkmcnt(0)
	v_cmp_lt_f64_e32 vcc, v[9:10], v[11:12]
	v_xor_b32_e32 v12, 4, v17
	v_cmp_lt_i32_e64 s[0:1], v12, v13
	v_cndmask_b32_e64 v12, v17, v12, s[0:1]
	v_lshlrev_b32_e32 v12, 2, v12
	v_cndmask_b32_e32 v10, v10, v14, vcc
	ds_bpermute_b32 v14, v12, v10
	v_cndmask_b32_e32 v9, v9, v11, vcc
	ds_bpermute_b32 v11, v12, v9
	s_waitcnt lgkmcnt(1)
	v_mov_b32_e32 v12, v14
	s_waitcnt lgkmcnt(0)
	;; [unrolled: 12-line block ×4, first 2 shown]
	v_cmp_lt_f64_e32 vcc, v[9:10], v[11:12]
	v_xor_b32_e32 v12, 32, v17
	v_cmp_lt_i32_e64 s[0:1], v12, v13
	v_cndmask_b32_e64 v12, v17, v12, s[0:1]
	v_lshlrev_b32_e32 v12, 2, v12
	v_cndmask_b32_e32 v10, v10, v14, vcc
	v_cndmask_b32_e32 v9, v9, v11, vcc
	ds_bpermute_b32 v13, v12, v10
	ds_bpermute_b32 v11, v12, v9
	s_waitcnt lgkmcnt(1)
	v_mov_b32_e32 v12, v13
	s_waitcnt lgkmcnt(0)
	v_cmp_lt_f64_e32 vcc, v[9:10], v[11:12]
	v_cndmask_b32_e32 v10, v10, v13, vcc
	v_cndmask_b32_e32 v9, v9, v11, vcc
.LBB2_123:
	v_ashrrev_i32_e32 v19, 31, v18
	s_load_dword s3, s[4:5], 0x180
	v_lshrrev_b32_e32 v11, 26, v19
	v_add_u32_e32 v11, v18, v11
	v_ashrrev_i32_e32 v20, 6, v11
	v_and_b32_e32 v11, 0xffffffc0, v11
	v_sub_u32_e32 v11, v18, v11
	s_cmp_gt_i32 s28, 64
	s_cselect_b64 s[36:37], -1, 0
	s_cmpk_lt_i32 s28, 0x41
	v_ashrrev_i32_e32 v12, 31, v11
	s_cbranch_scc1 .LBB2_131
; %bb.124:
	v_cmp_eq_u32_e32 vcc, 0, v11
	s_and_saveexec_b64 s[0:1], vcc
; %bb.125:
	v_lshlrev_b32_e32 v13, 3, v20
	ds_write_b64 v13, v[9:10]
; %bb.126:
	s_or_b64 exec, exec, s[0:1]
	v_add_co_u32_e32 v13, vcc, 63, v18
	v_addc_co_u32_e32 v14, vcc, 0, v19, vcc
	s_mov_b64 s[0:1], 0x7f
	v_cmp_gt_u64_e32 vcc, s[0:1], v[13:14]
	s_waitcnt lgkmcnt(0)
	s_barrier
	s_and_saveexec_b64 s[30:31], vcc
	s_cbranch_execz .LBB2_130
; %bb.127:
	v_lshlrev_b64 v[9:10], 6, v[11:12]
	v_cmp_gt_i64_e32 vcc, s[28:29], v[9:10]
	v_mov_b32_e32 v9, s24
	v_mov_b32_e32 v10, s25
	s_and_saveexec_b64 s[0:1], vcc
; %bb.128:
	v_lshlrev_b32_e32 v9, 3, v11
	ds_read_b64 v[9:10], v9
; %bb.129:
	s_or_b64 exec, exec, s[0:1]
	v_and_b32_e32 v13, 64, v17
	v_add_u32_e32 v15, 64, v13
	v_xor_b32_e32 v13, 1, v17
	v_cmp_lt_i32_e32 vcc, v13, v15
	v_cndmask_b32_e32 v13, v17, v13, vcc
	v_lshlrev_b32_e32 v13, 2, v13
	s_waitcnt lgkmcnt(0)
	ds_bpermute_b32 v16, v13, v10
	ds_bpermute_b32 v13, v13, v9
	s_waitcnt lgkmcnt(1)
	v_mov_b32_e32 v14, v16
	s_waitcnt lgkmcnt(0)
	v_cmp_lt_f64_e32 vcc, v[9:10], v[13:14]
	v_xor_b32_e32 v14, 2, v17
	v_cmp_lt_i32_e64 s[0:1], v14, v15
	v_cndmask_b32_e64 v14, v17, v14, s[0:1]
	v_lshlrev_b32_e32 v14, 2, v14
	v_cndmask_b32_e32 v10, v10, v16, vcc
	ds_bpermute_b32 v16, v14, v10
	v_cndmask_b32_e32 v9, v9, v13, vcc
	ds_bpermute_b32 v13, v14, v9
	s_waitcnt lgkmcnt(1)
	v_mov_b32_e32 v14, v16
	s_waitcnt lgkmcnt(0)
	v_cmp_lt_f64_e32 vcc, v[9:10], v[13:14]
	v_xor_b32_e32 v14, 4, v17
	v_cmp_lt_i32_e64 s[0:1], v14, v15
	v_cndmask_b32_e64 v14, v17, v14, s[0:1]
	v_lshlrev_b32_e32 v14, 2, v14
	v_cndmask_b32_e32 v10, v10, v16, vcc
	ds_bpermute_b32 v16, v14, v10
	v_cndmask_b32_e32 v9, v9, v13, vcc
	ds_bpermute_b32 v13, v14, v9
	s_waitcnt lgkmcnt(1)
	v_mov_b32_e32 v14, v16
	s_waitcnt lgkmcnt(0)
	v_cmp_lt_f64_e32 vcc, v[9:10], v[13:14]
	v_xor_b32_e32 v14, 8, v17
	v_cmp_lt_i32_e64 s[0:1], v14, v15
	v_cndmask_b32_e64 v14, v17, v14, s[0:1]
	v_lshlrev_b32_e32 v14, 2, v14
	v_cndmask_b32_e32 v10, v10, v16, vcc
	v_cndmask_b32_e32 v9, v9, v13, vcc
	ds_bpermute_b32 v15, v14, v10
	ds_bpermute_b32 v13, v14, v9
	s_waitcnt lgkmcnt(1)
	v_mov_b32_e32 v14, v15
	s_waitcnt lgkmcnt(0)
	v_cmp_lt_f64_e32 vcc, v[9:10], v[13:14]
	v_cndmask_b32_e32 v10, v10, v15, vcc
	v_cndmask_b32_e32 v9, v9, v13, vcc
.LBB2_130:
	s_or_b64 exec, exec, s[30:31]
	s_barrier
.LBB2_131:
	s_mul_i32 s0, s10, s2
	s_mul_i32 s1, s11, s10
	s_add_i32 s0, s0, s6
	s_mul_i32 s7, s1, s8
	s_add_i32 s0, s0, s7
	s_waitcnt lgkmcnt(0)
	s_mul_i32 s7, s3, s1
	s_ashr_i32 s1, s0, 31
	s_lshr_b32 s1, s1, 27
	s_add_i32 s9, s0, s1
	s_and_b32 s1, s9, 0xffffffe0
	s_sub_i32 s30, s0, s1
	s_ashr_i32 s0, s7, 31
	s_lshr_b32 s0, s0, 27
	s_add_i32 s0, s7, s0
	s_ashr_i32 s3, s0, 5
	s_andn2_b32 s0, s0, 31
	s_sub_i32 s0, s7, s0
	s_cmp_lt_i32 s30, s0
	s_cselect_b64 s[0:1], -1, 0
	s_cmp_lg_u64 s[0:1], 0
	s_addc_u32 s3, s3, 0
	s_cmp_gt_u32 s3, 1
	v_cmp_eq_u32_e64 s[0:1], 0, v18
	s_cbranch_scc0 .LBB2_152
; %bb.132:
	s_add_i32 s7, s7, 31
	s_ashr_i32 s10, s7, 31
	s_lshr_b32 s10, s10, 27
	s_add_i32 s7, s7, s10
	s_ashr_i32 s7, s7, 5
	s_mul_i32 s7, s7, s30
	s_and_saveexec_b64 s[10:11], s[0:1]
	s_cbranch_execz .LBB2_134
; %bb.133:
	s_ashr_i32 s9, s9, 5
	s_add_i32 s44, s7, s9
	s_ashr_i32 s45, s44, 31
	s_lshl_b32 s42, s30, 3
	s_lshl_b64 s[44:45], s[44:45], 3
	s_add_u32 s44, s40, s44
	s_addc_u32 s45, s41, s45
	s_ashr_i32 s43, s42, 31
	s_lshl_b64 s[42:43], s[42:43], 2
	v_mov_b32_e32 v13, s44
	s_add_u32 s26, s26, s42
	v_mov_b32_e32 v14, s45
	s_addc_u32 s27, s27, s43
	s_add_i32 s9, s3, -1
	flat_store_dwordx2 v[13:14], v[9:10]
	v_mov_b32_e32 v13, 0
	v_mov_b32_e32 v14, s9
	s_waitcnt vmcnt(0) lgkmcnt(0)
	global_atomic_inc v14, v13, v14, s[26:27] glc
	s_waitcnt vmcnt(0)
	v_cmp_eq_u32_e32 vcc, s9, v14
	v_cndmask_b32_e64 v14, 0, 1, vcc
	ds_write_b8 v13, v14 offset:384
.LBB2_134:
	s_or_b64 exec, exec, s[10:11]
	v_mov_b32_e32 v13, 0
	s_waitcnt lgkmcnt(0)
	s_barrier
	ds_read_u8 v13, v13 offset:384
	s_mov_b64 s[10:11], 0
	s_waitcnt lgkmcnt(0)
	v_and_b32_e32 v13, 1, v13
	v_cmp_eq_u32_e32 vcc, 0, v13
	v_mov_b32_e32 v14, v8
	v_mov_b32_e32 v13, v7
	s_cbranch_vccnz .LBB2_151
; %bb.135:
	v_mov_b32_e32 v13, s24
	v_cmp_gt_u32_e32 vcc, s3, v18
	v_mov_b32_e32 v14, s25
	s_and_saveexec_b64 s[26:27], vcc
	s_cbranch_execz .LBB2_139
; %bb.136:
	v_mov_b32_e32 v13, s24
	s_mov_b64 s[42:43], 0
	v_mov_b32_e32 v14, s25
	v_mov_b32_e32 v16, 0
	;; [unrolled: 1-line block ×4, first 2 shown]
.LBB2_137:                              ; =>This Inner Loop Header: Depth=1
	v_add_u32_e32 v15, s7, v22
	v_lshlrev_b64 v[23:24], 3, v[15:16]
	v_add_u32_e32 v22, s28, v22
	v_add_co_u32_e32 v23, vcc, s40, v23
	v_addc_co_u32_e32 v24, vcc, v21, v24, vcc
	flat_load_dwordx2 v[23:24], v[23:24] glc
	v_cmp_le_u32_e64 s[10:11], s3, v22
	s_or_b64 s[42:43], s[10:11], s[42:43]
	s_waitcnt vmcnt(0) lgkmcnt(0)
	v_cmp_lt_f64_e32 vcc, v[13:14], v[23:24]
	v_cndmask_b32_e32 v14, v14, v24, vcc
	v_cndmask_b32_e32 v13, v13, v23, vcc
	s_andn2_b64 exec, exec, s[42:43]
	s_cbranch_execnz .LBB2_137
; %bb.138:
	s_or_b64 exec, exec, s[42:43]
.LBB2_139:
	s_or_b64 exec, exec, s[26:27]
	s_andn2_b64 vcc, exec, s[34:35]
	s_cbranch_vccnz .LBB2_239
; %bb.140:
	v_and_b32_e32 v23, 64, v17
	v_xor_b32_e32 v21, 1, v18
	v_and_or_b32 v15, v21, 63, v23
	v_lshlrev_b32_e32 v15, 2, v15
	ds_bpermute_b32 v22, v15, v14
	ds_bpermute_b32 v15, v15, v13
	v_xor_b32_e32 v24, 2, v18
	v_cmp_gt_i32_e64 s[10:11], s28, v21
	v_xor_b32_e32 v26, 4, v18
	s_waitcnt lgkmcnt(1)
	v_mov_b32_e32 v16, v22
	s_waitcnt lgkmcnt(0)
	v_cmp_lt_f64_e32 vcc, v[13:14], v[15:16]
	v_and_or_b32 v16, v24, 63, v23
	v_lshlrev_b32_e32 v21, 2, v16
	s_and_b64 vcc, s[10:11], vcc
	v_cndmask_b32_e32 v16, v14, v22, vcc
	v_cndmask_b32_e32 v15, v13, v15, vcc
	ds_bpermute_b32 v25, v21, v16
	ds_bpermute_b32 v21, v21, v15
	v_cmp_gt_i32_e64 s[10:11], s28, v24
	s_waitcnt lgkmcnt(1)
	v_mov_b32_e32 v22, v25
	s_waitcnt lgkmcnt(0)
	v_cmp_lt_f64_e32 vcc, v[15:16], v[21:22]
	v_and_or_b32 v22, v26, 63, v23
	v_lshlrev_b32_e32 v22, 2, v22
	s_and_b64 vcc, s[10:11], vcc
	v_cndmask_b32_e32 v16, v16, v25, vcc
	v_cndmask_b32_e32 v15, v15, v21, vcc
	ds_bpermute_b32 v24, v22, v16
	ds_bpermute_b32 v21, v22, v15
	v_xor_b32_e32 v25, 8, v18
	v_cmp_gt_i32_e64 s[10:11], s28, v26
	v_xor_b32_e32 v26, 16, v18
	s_waitcnt lgkmcnt(1)
	v_mov_b32_e32 v22, v24
	s_waitcnt lgkmcnt(0)
	v_cmp_lt_f64_e32 vcc, v[15:16], v[21:22]
	v_and_or_b32 v22, v25, 63, v23
	v_lshlrev_b32_e32 v22, 2, v22
	s_and_b64 vcc, s[10:11], vcc
	v_cndmask_b32_e32 v16, v16, v24, vcc
	v_cndmask_b32_e32 v15, v15, v21, vcc
	ds_bpermute_b32 v24, v22, v16
	ds_bpermute_b32 v21, v22, v15
	v_cmp_gt_i32_e64 s[10:11], s28, v25
	v_xor_b32_e32 v25, 32, v18
	s_waitcnt lgkmcnt(1)
	v_mov_b32_e32 v22, v24
	s_waitcnt lgkmcnt(0)
	v_cmp_lt_f64_e32 vcc, v[15:16], v[21:22]
	v_and_or_b32 v22, v26, 63, v23
	v_lshlrev_b32_e32 v22, 2, v22
	s_and_b64 vcc, s[10:11], vcc
	v_cndmask_b32_e32 v16, v16, v24, vcc
	v_cndmask_b32_e32 v15, v15, v21, vcc
	ds_bpermute_b32 v24, v22, v16
	ds_bpermute_b32 v21, v22, v15
	v_cmp_gt_i32_e64 s[10:11], s28, v26
	s_waitcnt lgkmcnt(1)
	v_mov_b32_e32 v22, v24
	s_waitcnt lgkmcnt(0)
	v_cmp_lt_f64_e32 vcc, v[15:16], v[21:22]
	v_and_or_b32 v22, v25, 63, v23
	v_lshlrev_b32_e32 v22, 2, v22
	s_and_b64 vcc, s[10:11], vcc
	v_cndmask_b32_e32 v16, v16, v24, vcc
	v_cndmask_b32_e32 v15, v15, v21, vcc
	ds_bpermute_b32 v23, v22, v16
	ds_bpermute_b32 v21, v22, v15
	v_cmp_gt_i32_e64 s[10:11], s28, v25
	s_waitcnt lgkmcnt(1)
	v_mov_b32_e32 v22, v23
	s_waitcnt lgkmcnt(0)
	v_cmp_lt_f64_e32 vcc, v[15:16], v[21:22]
	s_and_b64 vcc, s[10:11], vcc
	v_cndmask_b32_e32 v16, v16, v23, vcc
	v_cndmask_b32_e32 v15, v15, v21, vcc
	s_cbranch_execnz .LBB2_142
.LBB2_141:
	v_and_b32_e32 v15, 64, v17
	v_add_u32_e32 v21, 64, v15
	v_xor_b32_e32 v15, 1, v17
	v_cmp_lt_i32_e32 vcc, v15, v21
	v_cndmask_b32_e32 v15, v17, v15, vcc
	v_lshlrev_b32_e32 v15, 2, v15
	ds_bpermute_b32 v22, v15, v14
	ds_bpermute_b32 v15, v15, v13
	s_waitcnt lgkmcnt(1)
	v_mov_b32_e32 v16, v22
	s_waitcnt lgkmcnt(0)
	v_cmp_lt_f64_e32 vcc, v[13:14], v[15:16]
	v_xor_b32_e32 v16, 2, v17
	v_cmp_lt_i32_e64 s[10:11], v16, v21
	v_cndmask_b32_e64 v16, v17, v16, s[10:11]
	v_lshlrev_b32_e32 v16, 2, v16
	v_cndmask_b32_e32 v14, v14, v22, vcc
	ds_bpermute_b32 v22, v16, v14
	v_cndmask_b32_e32 v13, v13, v15, vcc
	ds_bpermute_b32 v15, v16, v13
	s_waitcnt lgkmcnt(1)
	v_mov_b32_e32 v16, v22
	s_waitcnt lgkmcnt(0)
	v_cmp_lt_f64_e32 vcc, v[13:14], v[15:16]
	v_xor_b32_e32 v16, 4, v17
	v_cmp_lt_i32_e64 s[10:11], v16, v21
	v_cndmask_b32_e64 v16, v17, v16, s[10:11]
	v_lshlrev_b32_e32 v16, 2, v16
	v_cndmask_b32_e32 v14, v14, v22, vcc
	ds_bpermute_b32 v22, v16, v14
	v_cndmask_b32_e32 v13, v13, v15, vcc
	ds_bpermute_b32 v15, v16, v13
	s_waitcnt lgkmcnt(1)
	v_mov_b32_e32 v16, v22
	s_waitcnt lgkmcnt(0)
	v_cmp_lt_f64_e32 vcc, v[13:14], v[15:16]
	v_xor_b32_e32 v16, 8, v17
	v_cmp_lt_i32_e64 s[10:11], v16, v21
	v_cndmask_b32_e64 v16, v17, v16, s[10:11]
	v_lshlrev_b32_e32 v16, 2, v16
	v_cndmask_b32_e32 v14, v14, v22, vcc
	ds_bpermute_b32 v22, v16, v14
	v_cndmask_b32_e32 v13, v13, v15, vcc
	ds_bpermute_b32 v15, v16, v13
	s_waitcnt lgkmcnt(1)
	v_mov_b32_e32 v16, v22
	s_waitcnt lgkmcnt(0)
	v_cmp_lt_f64_e32 vcc, v[13:14], v[15:16]
	v_xor_b32_e32 v16, 16, v17
	v_cmp_lt_i32_e64 s[10:11], v16, v21
	v_cndmask_b32_e64 v16, v17, v16, s[10:11]
	v_lshlrev_b32_e32 v16, 2, v16
	v_cndmask_b32_e32 v14, v14, v22, vcc
	ds_bpermute_b32 v22, v16, v14
	v_cndmask_b32_e32 v13, v13, v15, vcc
	ds_bpermute_b32 v15, v16, v13
	s_waitcnt lgkmcnt(1)
	v_mov_b32_e32 v16, v22
	s_waitcnt lgkmcnt(0)
	v_cmp_lt_f64_e32 vcc, v[13:14], v[15:16]
	v_xor_b32_e32 v16, 32, v17
	v_cmp_lt_i32_e64 s[10:11], v16, v21
	v_cndmask_b32_e64 v16, v17, v16, s[10:11]
	v_lshlrev_b32_e32 v16, 2, v16
	v_cndmask_b32_e32 v14, v14, v22, vcc
	v_cndmask_b32_e32 v13, v13, v15, vcc
	ds_bpermute_b32 v21, v16, v14
	ds_bpermute_b32 v15, v16, v13
	s_waitcnt lgkmcnt(1)
	v_mov_b32_e32 v16, v21
	s_waitcnt lgkmcnt(0)
	v_cmp_lt_f64_e32 vcc, v[13:14], v[15:16]
	v_cndmask_b32_e32 v16, v14, v21, vcc
	v_cndmask_b32_e32 v15, v13, v15, vcc
.LBB2_142:
	s_andn2_b64 vcc, exec, s[36:37]
	s_cbranch_vccnz .LBB2_150
; %bb.143:
	v_cmp_eq_u32_e32 vcc, 0, v11
	s_and_saveexec_b64 s[10:11], vcc
; %bb.144:
	v_lshlrev_b32_e32 v13, 3, v20
	ds_write_b64 v13, v[15:16]
; %bb.145:
	s_or_b64 exec, exec, s[10:11]
	v_add_co_u32_e32 v13, vcc, 63, v18
	v_addc_co_u32_e32 v14, vcc, 0, v19, vcc
	s_mov_b64 s[10:11], 0x7f
	v_cmp_gt_u64_e32 vcc, s[10:11], v[13:14]
	s_waitcnt lgkmcnt(0)
	s_barrier
	s_and_saveexec_b64 s[26:27], vcc
	s_cbranch_execz .LBB2_149
; %bb.146:
	v_lshlrev_b64 v[12:13], 6, v[11:12]
	v_cmp_gt_i64_e32 vcc, s[28:29], v[12:13]
	v_mov_b32_e32 v12, s24
	v_mov_b32_e32 v13, s25
	s_and_saveexec_b64 s[10:11], vcc
; %bb.147:
	v_lshlrev_b32_e32 v11, 3, v11
	ds_read_b64 v[12:13], v11
; %bb.148:
	s_or_b64 exec, exec, s[10:11]
	v_and_b32_e32 v11, 64, v17
	v_add_u32_e32 v11, 64, v11
	v_xor_b32_e32 v14, 1, v17
	v_cmp_lt_i32_e32 vcc, v14, v11
	v_cndmask_b32_e32 v14, v17, v14, vcc
	v_lshlrev_b32_e32 v14, 2, v14
	s_waitcnt lgkmcnt(0)
	ds_bpermute_b32 v16, v14, v13
	ds_bpermute_b32 v14, v14, v12
	s_waitcnt lgkmcnt(1)
	v_mov_b32_e32 v15, v16
	s_waitcnt lgkmcnt(0)
	v_cmp_lt_f64_e32 vcc, v[12:13], v[14:15]
	v_xor_b32_e32 v15, 2, v17
	v_cmp_lt_i32_e64 s[10:11], v15, v11
	v_cndmask_b32_e64 v15, v17, v15, s[10:11]
	v_lshlrev_b32_e32 v15, 2, v15
	v_cndmask_b32_e32 v13, v13, v16, vcc
	ds_bpermute_b32 v16, v15, v13
	v_cndmask_b32_e32 v12, v12, v14, vcc
	ds_bpermute_b32 v14, v15, v12
	s_waitcnt lgkmcnt(1)
	v_mov_b32_e32 v15, v16
	s_waitcnt lgkmcnt(0)
	v_cmp_lt_f64_e32 vcc, v[12:13], v[14:15]
	v_xor_b32_e32 v15, 4, v17
	v_cmp_lt_i32_e64 s[10:11], v15, v11
	v_cndmask_b32_e64 v15, v17, v15, s[10:11]
	v_lshlrev_b32_e32 v15, 2, v15
	v_cndmask_b32_e32 v13, v13, v16, vcc
	ds_bpermute_b32 v16, v15, v13
	v_cndmask_b32_e32 v12, v12, v14, vcc
	ds_bpermute_b32 v14, v15, v12
	s_waitcnt lgkmcnt(1)
	v_mov_b32_e32 v15, v16
	s_waitcnt lgkmcnt(0)
	v_cmp_lt_f64_e32 vcc, v[12:13], v[14:15]
	v_xor_b32_e32 v15, 8, v17
	v_cmp_lt_i32_e64 s[10:11], v15, v11
	v_cndmask_b32_e64 v11, v17, v15, s[10:11]
	v_lshlrev_b32_e32 v11, 2, v11
	v_cndmask_b32_e32 v13, v13, v16, vcc
	v_cndmask_b32_e32 v12, v12, v14, vcc
	ds_bpermute_b32 v16, v11, v13
	ds_bpermute_b32 v14, v11, v12
	s_waitcnt lgkmcnt(1)
	v_mov_b32_e32 v15, v16
	s_waitcnt lgkmcnt(0)
	v_cmp_lt_f64_e32 vcc, v[12:13], v[14:15]
	v_cndmask_b32_e32 v16, v13, v16, vcc
	v_cndmask_b32_e32 v15, v12, v14, vcc
.LBB2_149:
	s_or_b64 exec, exec, s[26:27]
	s_barrier
.LBB2_150:
	v_mov_b32_e32 v11, 0
	ds_read_u8 v11, v11 offset:384
	v_cndmask_b32_e64 v14, v8, v16, s[0:1]
	v_cndmask_b32_e64 v13, v7, v15, s[0:1]
	s_waitcnt lgkmcnt(0)
	v_and_b32_e32 v11, 1, v11
	v_cmp_eq_u32_e64 s[10:11], 1, v11
.LBB2_151:
	s_and_b64 s[10:11], s[0:1], s[10:11]
	s_branch .LBB2_154
.LBB2_152:
                                        ; implicit-def: $sgpr10_sgpr11
                                        ; implicit-def: $vgpr13_vgpr14
	s_cbranch_execz .LBB2_154
; %bb.153:
	v_cndmask_b32_e64 v14, v8, v10, s[0:1]
	v_cndmask_b32_e64 v13, v7, v9, s[0:1]
	s_andn2_b64 s[10:11], s[10:11], exec
	s_and_b64 s[0:1], s[0:1], exec
	s_or_b64 s[10:11], s[10:11], s[0:1]
.LBB2_154:
	s_and_saveexec_b64 s[0:1], s[10:11]
	s_cbranch_execz .LBB2_156
; %bb.155:
	s_ashr_i32 s31, s30, 31
	s_lshl_b64 s[10:11], s[30:31], 3
	s_add_u32 s10, s38, s10
	s_addc_u32 s11, s39, s11
	v_mov_b32_e32 v7, s10
	v_mov_b32_e32 v8, s11
	flat_store_dwordx2 v[7:8], v[13:14]
.LBB2_156:
	s_or_b64 exec, exec, s[0:1]
	s_load_dwordx4 s[24:27], s[4:5], 0x0
	s_cmp_lg_u64 s[12:13], 0
	s_cbranch_scc1 .LBB2_6
.LBB2_157:
	s_load_dwordx2 s[10:11], s[4:5], 0x178
	s_add_u32 s0, s4, 0x178
	v_mov_b32_e32 v7, 0
	s_addc_u32 s1, s5, 0
	global_load_dword v8, v7, s[4:5] offset:390
	s_waitcnt lgkmcnt(0)
	s_cmp_lt_u32 s6, s10
	s_cselect_b32 s3, 12, 18
	s_add_u32 s0, s0, s3
	s_addc_u32 s1, s1, 0
	global_load_ushort v7, v7, s[0:1]
	v_mbcnt_lo_u32_b32 v9, -1, 0
	v_mbcnt_hi_u32_b32 v15, -1, v9
	s_waitcnt vmcnt(0)
	v_readfirstlane_b32 s0, v8
	s_lshr_b32 s1, s0, 16
	s_and_b32 s0, s0, 0xffff
	v_readfirstlane_b32 s3, v7
	s_mul_i32 s0, s0, s3
	v_mul_u32_u24_e32 v8, v1, v7
	v_mul_lo_u32 v7, s0, v2
	s_mul_i32 s12, s0, s1
	s_ashr_i32 s13, s12, 31
	s_and_b32 s0, s12, 63
	s_cmp_lg_u32 s0, 0
	s_cselect_b64 s[30:31], -1, 0
	s_cmp_eq_u32 s0, 0
	v_add3_u32 v16, v8, v0, v7
	s_cbranch_scc1 .LBB2_234
; %bb.158:
	v_and_b32_e32 v11, 64, v15
	v_xor_b32_e32 v9, 1, v16
	v_and_or_b32 v7, v9, 63, v11
	v_lshlrev_b32_e32 v7, 2, v7
	ds_bpermute_b32 v10, v7, v6
	ds_bpermute_b32 v7, v7, v5
	v_xor_b32_e32 v12, 2, v16
	v_cmp_gt_i32_e64 s[0:1], s12, v9
	v_xor_b32_e32 v14, 4, v16
	s_waitcnt lgkmcnt(1)
	v_mov_b32_e32 v8, v10
	s_waitcnt lgkmcnt(0)
	v_cmp_gt_f64_e32 vcc, v[5:6], v[7:8]
	v_and_or_b32 v8, v12, 63, v11
	v_lshlrev_b32_e32 v9, 2, v8
	s_and_b64 vcc, s[0:1], vcc
	v_cndmask_b32_e32 v8, v6, v10, vcc
	v_cndmask_b32_e32 v7, v5, v7, vcc
	ds_bpermute_b32 v13, v9, v8
	ds_bpermute_b32 v9, v9, v7
	v_cmp_gt_i32_e64 s[0:1], s12, v12
	s_waitcnt lgkmcnt(1)
	v_mov_b32_e32 v10, v13
	s_waitcnt lgkmcnt(0)
	v_cmp_gt_f64_e32 vcc, v[7:8], v[9:10]
	v_and_or_b32 v10, v14, 63, v11
	v_lshlrev_b32_e32 v10, 2, v10
	s_and_b64 vcc, s[0:1], vcc
	v_cndmask_b32_e32 v8, v8, v13, vcc
	v_cndmask_b32_e32 v7, v7, v9, vcc
	ds_bpermute_b32 v12, v10, v8
	ds_bpermute_b32 v9, v10, v7
	v_xor_b32_e32 v13, 8, v16
	v_cmp_gt_i32_e64 s[0:1], s12, v14
	v_xor_b32_e32 v14, 16, v16
	s_waitcnt lgkmcnt(1)
	v_mov_b32_e32 v10, v12
	s_waitcnt lgkmcnt(0)
	v_cmp_gt_f64_e32 vcc, v[7:8], v[9:10]
	v_and_or_b32 v10, v13, 63, v11
	v_lshlrev_b32_e32 v10, 2, v10
	s_and_b64 vcc, s[0:1], vcc
	v_cndmask_b32_e32 v8, v8, v12, vcc
	v_cndmask_b32_e32 v7, v7, v9, vcc
	ds_bpermute_b32 v12, v10, v8
	ds_bpermute_b32 v9, v10, v7
	v_cmp_gt_i32_e64 s[0:1], s12, v13
	v_xor_b32_e32 v13, 32, v16
	s_waitcnt lgkmcnt(1)
	v_mov_b32_e32 v10, v12
	s_waitcnt lgkmcnt(0)
	v_cmp_gt_f64_e32 vcc, v[7:8], v[9:10]
	v_and_or_b32 v10, v14, 63, v11
	v_lshlrev_b32_e32 v10, 2, v10
	s_and_b64 vcc, s[0:1], vcc
	v_cndmask_b32_e32 v8, v8, v12, vcc
	v_cndmask_b32_e32 v7, v7, v9, vcc
	ds_bpermute_b32 v12, v10, v8
	ds_bpermute_b32 v9, v10, v7
	v_cmp_gt_i32_e64 s[0:1], s12, v14
	s_waitcnt lgkmcnt(1)
	v_mov_b32_e32 v10, v12
	s_waitcnt lgkmcnt(0)
	v_cmp_gt_f64_e32 vcc, v[7:8], v[9:10]
	v_and_or_b32 v10, v13, 63, v11
	v_lshlrev_b32_e32 v10, 2, v10
	s_and_b64 vcc, s[0:1], vcc
	v_cndmask_b32_e32 v8, v8, v12, vcc
	v_cndmask_b32_e32 v7, v7, v9, vcc
	ds_bpermute_b32 v11, v10, v8
	ds_bpermute_b32 v9, v10, v7
	v_cmp_gt_i32_e64 s[0:1], s12, v13
	s_waitcnt lgkmcnt(1)
	v_mov_b32_e32 v10, v11
	s_waitcnt lgkmcnt(0)
	v_cmp_gt_f64_e32 vcc, v[7:8], v[9:10]
	s_and_b64 vcc, s[0:1], vcc
	v_cndmask_b32_e32 v8, v8, v11, vcc
	v_cndmask_b32_e32 v7, v7, v9, vcc
	s_load_dwordx2 s[36:37], s[4:5], 0x68
	s_cbranch_execnz .LBB2_160
.LBB2_159:
	v_and_b32_e32 v7, 64, v15
	v_add_u32_e32 v11, 64, v7
	v_xor_b32_e32 v7, 1, v15
	v_cmp_lt_i32_e32 vcc, v7, v11
	v_cndmask_b32_e32 v7, v15, v7, vcc
	v_lshlrev_b32_e32 v7, 2, v7
	ds_bpermute_b32 v9, v7, v6
	ds_bpermute_b32 v7, v7, v5
	s_waitcnt lgkmcnt(0)
	v_mov_b32_e32 v8, v9
	v_cmp_gt_f64_e32 vcc, v[5:6], v[7:8]
	v_xor_b32_e32 v8, 2, v15
	v_cmp_lt_i32_e64 s[0:1], v8, v11
	v_cndmask_b32_e64 v8, v15, v8, s[0:1]
	v_lshlrev_b32_e32 v10, 2, v8
	v_cndmask_b32_e32 v8, v6, v9, vcc
	ds_bpermute_b32 v12, v10, v8
	v_cndmask_b32_e32 v7, v5, v7, vcc
	ds_bpermute_b32 v9, v10, v7
	s_waitcnt lgkmcnt(1)
	v_mov_b32_e32 v10, v12
	s_waitcnt lgkmcnt(0)
	v_cmp_gt_f64_e32 vcc, v[7:8], v[9:10]
	v_xor_b32_e32 v10, 4, v15
	v_cmp_lt_i32_e64 s[0:1], v10, v11
	v_cndmask_b32_e64 v10, v15, v10, s[0:1]
	v_lshlrev_b32_e32 v10, 2, v10
	v_cndmask_b32_e32 v8, v8, v12, vcc
	ds_bpermute_b32 v12, v10, v8
	v_cndmask_b32_e32 v7, v7, v9, vcc
	ds_bpermute_b32 v9, v10, v7
	s_waitcnt lgkmcnt(1)
	v_mov_b32_e32 v10, v12
	s_waitcnt lgkmcnt(0)
	;; [unrolled: 12-line block ×4, first 2 shown]
	v_cmp_gt_f64_e32 vcc, v[7:8], v[9:10]
	v_xor_b32_e32 v10, 32, v15
	v_cmp_lt_i32_e64 s[0:1], v10, v11
	v_cndmask_b32_e64 v10, v15, v10, s[0:1]
	v_lshlrev_b32_e32 v10, 2, v10
	v_cndmask_b32_e32 v8, v8, v12, vcc
	v_cndmask_b32_e32 v7, v7, v9, vcc
	ds_bpermute_b32 v11, v10, v8
	ds_bpermute_b32 v9, v10, v7
	s_waitcnt lgkmcnt(1)
	v_mov_b32_e32 v10, v11
	s_waitcnt lgkmcnt(0)
	v_cmp_gt_f64_e32 vcc, v[7:8], v[9:10]
	v_cndmask_b32_e32 v8, v8, v11, vcc
	v_cndmask_b32_e32 v7, v7, v9, vcc
.LBB2_160:
	v_ashrrev_i32_e32 v17, 31, v16
	s_load_dword s3, s[4:5], 0x180
	v_lshrrev_b32_e32 v9, 26, v17
	v_add_u32_e32 v9, v16, v9
	v_ashrrev_i32_e32 v18, 6, v9
	v_and_b32_e32 v9, 0xffffffc0, v9
	v_sub_u32_e32 v9, v16, v9
	s_cmp_gt_i32 s12, 64
	s_cselect_b64 s[34:35], -1, 0
	s_cmpk_lt_i32 s12, 0x41
	v_ashrrev_i32_e32 v10, 31, v9
	s_cbranch_scc1 .LBB2_168
; %bb.161:
	v_cmp_eq_u32_e32 vcc, 0, v9
	s_and_saveexec_b64 s[0:1], vcc
; %bb.162:
	v_lshlrev_b32_e32 v11, 3, v18
	ds_write_b64 v11, v[7:8] offset:128
; %bb.163:
	s_or_b64 exec, exec, s[0:1]
	v_add_co_u32_e32 v11, vcc, 63, v16
	v_addc_co_u32_e32 v12, vcc, 0, v17, vcc
	s_mov_b64 s[0:1], 0x7f
	v_cmp_gt_u64_e32 vcc, s[0:1], v[11:12]
	s_waitcnt lgkmcnt(0)
	s_barrier
	s_and_saveexec_b64 s[28:29], vcc
	s_cbranch_execz .LBB2_167
; %bb.164:
	v_lshlrev_b64 v[7:8], 6, v[9:10]
	v_cmp_gt_i64_e32 vcc, s[12:13], v[7:8]
	v_mov_b32_e32 v7, s20
	v_mov_b32_e32 v8, s21
	s_and_saveexec_b64 s[0:1], vcc
; %bb.165:
	v_lshlrev_b32_e32 v7, 3, v9
	ds_read_b64 v[7:8], v7 offset:128
; %bb.166:
	s_or_b64 exec, exec, s[0:1]
	v_and_b32_e32 v11, 64, v15
	v_add_u32_e32 v13, 64, v11
	v_xor_b32_e32 v11, 1, v15
	v_cmp_lt_i32_e32 vcc, v11, v13
	v_cndmask_b32_e32 v11, v15, v11, vcc
	v_lshlrev_b32_e32 v11, 2, v11
	s_waitcnt lgkmcnt(0)
	ds_bpermute_b32 v14, v11, v8
	ds_bpermute_b32 v11, v11, v7
	s_waitcnt lgkmcnt(1)
	v_mov_b32_e32 v12, v14
	s_waitcnt lgkmcnt(0)
	v_cmp_gt_f64_e32 vcc, v[7:8], v[11:12]
	v_xor_b32_e32 v12, 2, v15
	v_cmp_lt_i32_e64 s[0:1], v12, v13
	v_cndmask_b32_e64 v12, v15, v12, s[0:1]
	v_lshlrev_b32_e32 v12, 2, v12
	v_cndmask_b32_e32 v8, v8, v14, vcc
	ds_bpermute_b32 v14, v12, v8
	v_cndmask_b32_e32 v7, v7, v11, vcc
	ds_bpermute_b32 v11, v12, v7
	s_waitcnt lgkmcnt(1)
	v_mov_b32_e32 v12, v14
	s_waitcnt lgkmcnt(0)
	v_cmp_gt_f64_e32 vcc, v[7:8], v[11:12]
	v_xor_b32_e32 v12, 4, v15
	v_cmp_lt_i32_e64 s[0:1], v12, v13
	v_cndmask_b32_e64 v12, v15, v12, s[0:1]
	v_lshlrev_b32_e32 v12, 2, v12
	v_cndmask_b32_e32 v8, v8, v14, vcc
	ds_bpermute_b32 v14, v12, v8
	v_cndmask_b32_e32 v7, v7, v11, vcc
	ds_bpermute_b32 v11, v12, v7
	s_waitcnt lgkmcnt(1)
	v_mov_b32_e32 v12, v14
	s_waitcnt lgkmcnt(0)
	v_cmp_gt_f64_e32 vcc, v[7:8], v[11:12]
	v_xor_b32_e32 v12, 8, v15
	v_cmp_lt_i32_e64 s[0:1], v12, v13
	v_cndmask_b32_e64 v12, v15, v12, s[0:1]
	v_lshlrev_b32_e32 v12, 2, v12
	v_cndmask_b32_e32 v8, v8, v14, vcc
	v_cndmask_b32_e32 v7, v7, v11, vcc
	ds_bpermute_b32 v13, v12, v8
	ds_bpermute_b32 v11, v12, v7
	s_waitcnt lgkmcnt(1)
	v_mov_b32_e32 v12, v13
	s_waitcnt lgkmcnt(0)
	v_cmp_gt_f64_e32 vcc, v[7:8], v[11:12]
	v_cndmask_b32_e32 v8, v8, v13, vcc
	v_cndmask_b32_e32 v7, v7, v11, vcc
.LBB2_167:
	s_or_b64 exec, exec, s[28:29]
	s_barrier
.LBB2_168:
	s_mul_i32 s0, s10, s2
	s_mul_i32 s1, s11, s10
	s_add_i32 s0, s0, s6
	s_mul_i32 s7, s1, s8
	s_add_i32 s0, s0, s7
	s_waitcnt lgkmcnt(0)
	s_mul_i32 s7, s3, s1
	s_ashr_i32 s1, s0, 31
	s_lshr_b32 s1, s1, 27
	s_add_i32 s9, s0, s1
	s_and_b32 s1, s9, 0xffffffe0
	s_sub_i32 s28, s0, s1
	s_ashr_i32 s0, s7, 31
	s_lshr_b32 s0, s0, 27
	s_add_i32 s0, s7, s0
	s_ashr_i32 s3, s0, 5
	s_andn2_b32 s0, s0, 31
	s_sub_i32 s0, s7, s0
	s_cmp_lt_i32 s28, s0
	s_cselect_b64 s[0:1], -1, 0
	s_cmp_lg_u64 s[0:1], 0
	s_addc_u32 s3, s3, 0
	s_cmp_gt_u32 s3, 1
	v_cmp_eq_u32_e64 s[0:1], 0, v16
	s_cbranch_scc0 .LBB2_189
; %bb.169:
	s_add_i32 s7, s7, 31
	s_ashr_i32 s10, s7, 31
	s_lshr_b32 s10, s10, 27
	s_add_i32 s7, s7, s10
	s_ashr_i32 s7, s7, 5
	s_mul_i32 s7, s7, s28
	s_and_saveexec_b64 s[10:11], s[0:1]
	s_cbranch_execz .LBB2_171
; %bb.170:
	s_ashr_i32 s9, s9, 5
	s_add_i32 s40, s7, s9
	s_ashr_i32 s41, s40, 31
	s_lshl_b32 s38, s28, 3
	s_lshl_b64 s[40:41], s[40:41], 3
	s_add_u32 s40, s36, s40
	s_addc_u32 s41, s37, s41
	s_ashr_i32 s39, s38, 31
	s_lshl_b64 s[38:39], s[38:39], 2
	v_mov_b32_e32 v11, s40
	s_add_u32 s22, s22, s38
	v_mov_b32_e32 v12, s41
	s_addc_u32 s23, s23, s39
	s_add_i32 s9, s3, -1
	flat_store_dwordx2 v[11:12], v[7:8]
	v_mov_b32_e32 v11, 0
	v_mov_b32_e32 v12, s9
	s_waitcnt vmcnt(0) lgkmcnt(0)
	global_atomic_inc v12, v11, v12, s[22:23] glc
	s_waitcnt vmcnt(0)
	v_cmp_eq_u32_e32 vcc, s9, v12
	v_cndmask_b32_e64 v12, 0, 1, vcc
	ds_write_b8 v11, v12 offset:385
.LBB2_171:
	s_or_b64 exec, exec, s[10:11]
	v_mov_b32_e32 v11, 0
	s_waitcnt lgkmcnt(0)
	s_barrier
	ds_read_u8 v11, v11 offset:385
	s_mov_b64 s[10:11], 0
	s_waitcnt lgkmcnt(0)
	v_cmp_eq_u32_e32 vcc, 0, v11
	v_mov_b32_e32 v12, v6
	v_mov_b32_e32 v11, v5
	s_cbranch_vccnz .LBB2_188
; %bb.172:
	v_mov_b32_e32 v11, s20
	v_cmp_gt_u32_e32 vcc, s3, v16
	v_mov_b32_e32 v12, s21
	s_and_saveexec_b64 s[22:23], vcc
	s_cbranch_execz .LBB2_176
; %bb.173:
	v_mov_b32_e32 v11, s20
	s_mov_b64 s[38:39], 0
	v_mov_b32_e32 v12, s21
	v_mov_b32_e32 v14, 0
	;; [unrolled: 1-line block ×4, first 2 shown]
.LBB2_174:                              ; =>This Inner Loop Header: Depth=1
	v_add_u32_e32 v13, s7, v20
	v_lshlrev_b64 v[21:22], 3, v[13:14]
	v_add_u32_e32 v20, s12, v20
	v_add_co_u32_e32 v21, vcc, s36, v21
	v_addc_co_u32_e32 v22, vcc, v19, v22, vcc
	flat_load_dwordx2 v[21:22], v[21:22] glc
	v_cmp_le_u32_e64 s[10:11], s3, v20
	s_or_b64 s[38:39], s[10:11], s[38:39]
	s_waitcnt vmcnt(0) lgkmcnt(0)
	v_cmp_gt_f64_e32 vcc, v[11:12], v[21:22]
	v_cndmask_b32_e32 v12, v12, v22, vcc
	v_cndmask_b32_e32 v11, v11, v21, vcc
	s_andn2_b64 exec, exec, s[38:39]
	s_cbranch_execnz .LBB2_174
; %bb.175:
	s_or_b64 exec, exec, s[38:39]
.LBB2_176:
	s_or_b64 exec, exec, s[22:23]
	s_andn2_b64 vcc, exec, s[30:31]
	s_cbranch_vccnz .LBB2_240
; %bb.177:
	v_and_b32_e32 v21, 64, v15
	v_xor_b32_e32 v19, 1, v16
	v_and_or_b32 v13, v19, 63, v21
	v_lshlrev_b32_e32 v13, 2, v13
	ds_bpermute_b32 v20, v13, v12
	ds_bpermute_b32 v13, v13, v11
	v_xor_b32_e32 v22, 2, v16
	v_cmp_gt_i32_e64 s[10:11], s12, v19
	v_xor_b32_e32 v24, 4, v16
	s_waitcnt lgkmcnt(1)
	v_mov_b32_e32 v14, v20
	s_waitcnt lgkmcnt(0)
	v_cmp_gt_f64_e32 vcc, v[11:12], v[13:14]
	v_and_or_b32 v14, v22, 63, v21
	v_lshlrev_b32_e32 v19, 2, v14
	s_and_b64 vcc, s[10:11], vcc
	v_cndmask_b32_e32 v14, v12, v20, vcc
	v_cndmask_b32_e32 v13, v11, v13, vcc
	ds_bpermute_b32 v23, v19, v14
	ds_bpermute_b32 v19, v19, v13
	v_cmp_gt_i32_e64 s[10:11], s12, v22
	s_waitcnt lgkmcnt(1)
	v_mov_b32_e32 v20, v23
	s_waitcnt lgkmcnt(0)
	v_cmp_gt_f64_e32 vcc, v[13:14], v[19:20]
	v_and_or_b32 v20, v24, 63, v21
	v_lshlrev_b32_e32 v20, 2, v20
	s_and_b64 vcc, s[10:11], vcc
	v_cndmask_b32_e32 v14, v14, v23, vcc
	v_cndmask_b32_e32 v13, v13, v19, vcc
	ds_bpermute_b32 v22, v20, v14
	ds_bpermute_b32 v19, v20, v13
	v_xor_b32_e32 v23, 8, v16
	v_cmp_gt_i32_e64 s[10:11], s12, v24
	v_xor_b32_e32 v24, 16, v16
	s_waitcnt lgkmcnt(1)
	v_mov_b32_e32 v20, v22
	s_waitcnt lgkmcnt(0)
	v_cmp_gt_f64_e32 vcc, v[13:14], v[19:20]
	v_and_or_b32 v20, v23, 63, v21
	v_lshlrev_b32_e32 v20, 2, v20
	s_and_b64 vcc, s[10:11], vcc
	v_cndmask_b32_e32 v14, v14, v22, vcc
	v_cndmask_b32_e32 v13, v13, v19, vcc
	ds_bpermute_b32 v22, v20, v14
	ds_bpermute_b32 v19, v20, v13
	v_cmp_gt_i32_e64 s[10:11], s12, v23
	v_xor_b32_e32 v23, 32, v16
	s_waitcnt lgkmcnt(1)
	v_mov_b32_e32 v20, v22
	s_waitcnt lgkmcnt(0)
	v_cmp_gt_f64_e32 vcc, v[13:14], v[19:20]
	v_and_or_b32 v20, v24, 63, v21
	v_lshlrev_b32_e32 v20, 2, v20
	s_and_b64 vcc, s[10:11], vcc
	v_cndmask_b32_e32 v14, v14, v22, vcc
	v_cndmask_b32_e32 v13, v13, v19, vcc
	ds_bpermute_b32 v22, v20, v14
	ds_bpermute_b32 v19, v20, v13
	v_cmp_gt_i32_e64 s[10:11], s12, v24
	s_waitcnt lgkmcnt(1)
	v_mov_b32_e32 v20, v22
	s_waitcnt lgkmcnt(0)
	v_cmp_gt_f64_e32 vcc, v[13:14], v[19:20]
	v_and_or_b32 v20, v23, 63, v21
	v_lshlrev_b32_e32 v20, 2, v20
	s_and_b64 vcc, s[10:11], vcc
	v_cndmask_b32_e32 v14, v14, v22, vcc
	v_cndmask_b32_e32 v13, v13, v19, vcc
	ds_bpermute_b32 v21, v20, v14
	ds_bpermute_b32 v19, v20, v13
	v_cmp_gt_i32_e64 s[10:11], s12, v23
	s_waitcnt lgkmcnt(1)
	v_mov_b32_e32 v20, v21
	s_waitcnt lgkmcnt(0)
	v_cmp_gt_f64_e32 vcc, v[13:14], v[19:20]
	s_and_b64 vcc, s[10:11], vcc
	v_cndmask_b32_e32 v14, v14, v21, vcc
	v_cndmask_b32_e32 v13, v13, v19, vcc
	s_cbranch_execnz .LBB2_179
.LBB2_178:
	v_and_b32_e32 v13, 64, v15
	v_add_u32_e32 v19, 64, v13
	v_xor_b32_e32 v13, 1, v15
	v_cmp_lt_i32_e32 vcc, v13, v19
	v_cndmask_b32_e32 v13, v15, v13, vcc
	v_lshlrev_b32_e32 v13, 2, v13
	ds_bpermute_b32 v20, v13, v12
	ds_bpermute_b32 v13, v13, v11
	s_waitcnt lgkmcnt(1)
	v_mov_b32_e32 v14, v20
	s_waitcnt lgkmcnt(0)
	v_cmp_gt_f64_e32 vcc, v[11:12], v[13:14]
	v_xor_b32_e32 v14, 2, v15
	v_cmp_lt_i32_e64 s[10:11], v14, v19
	v_cndmask_b32_e64 v14, v15, v14, s[10:11]
	v_lshlrev_b32_e32 v14, 2, v14
	v_cndmask_b32_e32 v12, v12, v20, vcc
	ds_bpermute_b32 v20, v14, v12
	v_cndmask_b32_e32 v11, v11, v13, vcc
	ds_bpermute_b32 v13, v14, v11
	s_waitcnt lgkmcnt(1)
	v_mov_b32_e32 v14, v20
	s_waitcnt lgkmcnt(0)
	v_cmp_gt_f64_e32 vcc, v[11:12], v[13:14]
	v_xor_b32_e32 v14, 4, v15
	v_cmp_lt_i32_e64 s[10:11], v14, v19
	v_cndmask_b32_e64 v14, v15, v14, s[10:11]
	v_lshlrev_b32_e32 v14, 2, v14
	v_cndmask_b32_e32 v12, v12, v20, vcc
	ds_bpermute_b32 v20, v14, v12
	v_cndmask_b32_e32 v11, v11, v13, vcc
	;; [unrolled: 12-line block ×4, first 2 shown]
	ds_bpermute_b32 v13, v14, v11
	s_waitcnt lgkmcnt(1)
	v_mov_b32_e32 v14, v20
	s_waitcnt lgkmcnt(0)
	v_cmp_gt_f64_e32 vcc, v[11:12], v[13:14]
	v_xor_b32_e32 v14, 32, v15
	v_cmp_lt_i32_e64 s[10:11], v14, v19
	v_cndmask_b32_e64 v14, v15, v14, s[10:11]
	v_lshlrev_b32_e32 v14, 2, v14
	v_cndmask_b32_e32 v12, v12, v20, vcc
	v_cndmask_b32_e32 v11, v11, v13, vcc
	ds_bpermute_b32 v19, v14, v12
	ds_bpermute_b32 v13, v14, v11
	s_waitcnt lgkmcnt(1)
	v_mov_b32_e32 v14, v19
	s_waitcnt lgkmcnt(0)
	v_cmp_gt_f64_e32 vcc, v[11:12], v[13:14]
	v_cndmask_b32_e32 v14, v12, v19, vcc
	v_cndmask_b32_e32 v13, v11, v13, vcc
.LBB2_179:
	s_andn2_b64 vcc, exec, s[34:35]
	s_cbranch_vccnz .LBB2_187
; %bb.180:
	v_cmp_eq_u32_e32 vcc, 0, v9
	s_and_saveexec_b64 s[10:11], vcc
; %bb.181:
	v_lshlrev_b32_e32 v11, 3, v18
	ds_write_b64 v11, v[13:14] offset:128
; %bb.182:
	s_or_b64 exec, exec, s[10:11]
	v_add_co_u32_e32 v11, vcc, 63, v16
	v_addc_co_u32_e32 v12, vcc, 0, v17, vcc
	s_mov_b64 s[10:11], 0x7f
	v_cmp_gt_u64_e32 vcc, s[10:11], v[11:12]
	s_waitcnt lgkmcnt(0)
	s_barrier
	s_and_saveexec_b64 s[22:23], vcc
	s_cbranch_execz .LBB2_186
; %bb.183:
	v_lshlrev_b64 v[10:11], 6, v[9:10]
	v_cmp_gt_i64_e32 vcc, s[12:13], v[10:11]
	v_mov_b32_e32 v10, s20
	v_mov_b32_e32 v11, s21
	s_and_saveexec_b64 s[10:11], vcc
; %bb.184:
	v_lshlrev_b32_e32 v9, 3, v9
	ds_read_b64 v[10:11], v9 offset:128
; %bb.185:
	s_or_b64 exec, exec, s[10:11]
	v_and_b32_e32 v9, 64, v15
	v_add_u32_e32 v9, 64, v9
	v_xor_b32_e32 v12, 1, v15
	v_cmp_lt_i32_e32 vcc, v12, v9
	v_cndmask_b32_e32 v12, v15, v12, vcc
	v_lshlrev_b32_e32 v12, 2, v12
	s_waitcnt lgkmcnt(0)
	ds_bpermute_b32 v14, v12, v11
	ds_bpermute_b32 v12, v12, v10
	s_waitcnt lgkmcnt(1)
	v_mov_b32_e32 v13, v14
	s_waitcnt lgkmcnt(0)
	v_cmp_gt_f64_e32 vcc, v[10:11], v[12:13]
	v_xor_b32_e32 v13, 2, v15
	v_cmp_lt_i32_e64 s[10:11], v13, v9
	v_cndmask_b32_e64 v13, v15, v13, s[10:11]
	v_lshlrev_b32_e32 v13, 2, v13
	v_cndmask_b32_e32 v11, v11, v14, vcc
	ds_bpermute_b32 v14, v13, v11
	v_cndmask_b32_e32 v10, v10, v12, vcc
	ds_bpermute_b32 v12, v13, v10
	s_waitcnt lgkmcnt(1)
	v_mov_b32_e32 v13, v14
	s_waitcnt lgkmcnt(0)
	v_cmp_gt_f64_e32 vcc, v[10:11], v[12:13]
	v_xor_b32_e32 v13, 4, v15
	v_cmp_lt_i32_e64 s[10:11], v13, v9
	v_cndmask_b32_e64 v13, v15, v13, s[10:11]
	v_lshlrev_b32_e32 v13, 2, v13
	v_cndmask_b32_e32 v11, v11, v14, vcc
	ds_bpermute_b32 v14, v13, v11
	v_cndmask_b32_e32 v10, v10, v12, vcc
	ds_bpermute_b32 v12, v13, v10
	s_waitcnt lgkmcnt(1)
	v_mov_b32_e32 v13, v14
	s_waitcnt lgkmcnt(0)
	v_cmp_gt_f64_e32 vcc, v[10:11], v[12:13]
	v_xor_b32_e32 v13, 8, v15
	v_cmp_lt_i32_e64 s[10:11], v13, v9
	v_cndmask_b32_e64 v9, v15, v13, s[10:11]
	v_lshlrev_b32_e32 v9, 2, v9
	v_cndmask_b32_e32 v11, v11, v14, vcc
	v_cndmask_b32_e32 v10, v10, v12, vcc
	ds_bpermute_b32 v14, v9, v11
	ds_bpermute_b32 v12, v9, v10
	s_waitcnt lgkmcnt(1)
	v_mov_b32_e32 v13, v14
	s_waitcnt lgkmcnt(0)
	v_cmp_gt_f64_e32 vcc, v[10:11], v[12:13]
	v_cndmask_b32_e32 v14, v11, v14, vcc
	v_cndmask_b32_e32 v13, v10, v12, vcc
.LBB2_186:
	s_or_b64 exec, exec, s[22:23]
	s_barrier
.LBB2_187:
	v_mov_b32_e32 v9, 0
	ds_read_u8 v9, v9 offset:385
	v_cndmask_b32_e64 v12, v6, v14, s[0:1]
	v_cndmask_b32_e64 v11, v5, v13, s[0:1]
	s_waitcnt lgkmcnt(0)
	v_and_b32_e32 v9, 1, v9
	v_cmp_eq_u32_e64 s[10:11], 1, v9
.LBB2_188:
	s_and_b64 s[10:11], s[0:1], s[10:11]
	s_branch .LBB2_191
.LBB2_189:
                                        ; implicit-def: $sgpr10_sgpr11
                                        ; implicit-def: $vgpr11_vgpr12
	s_cbranch_execz .LBB2_191
; %bb.190:
	v_cndmask_b32_e64 v12, v6, v8, s[0:1]
	v_cndmask_b32_e64 v11, v5, v7, s[0:1]
	s_andn2_b64 s[10:11], s[10:11], exec
	s_and_b64 s[0:1], s[0:1], exec
	s_or_b64 s[10:11], s[10:11], s[0:1]
.LBB2_191:
	s_and_saveexec_b64 s[0:1], s[10:11]
	s_cbranch_execz .LBB2_193
; %bb.192:
	s_ashr_i32 s29, s28, 31
	s_lshl_b64 s[10:11], s[28:29], 3
	s_add_u32 s10, s14, s10
	s_addc_u32 s11, s15, s11
	v_mov_b32_e32 v5, s10
	v_mov_b32_e32 v6, s11
	flat_store_dwordx2 v[5:6], v[11:12]
.LBB2_193:
	s_or_b64 exec, exec, s[0:1]
	s_cmp_lg_u64 s[24:25], 0
	s_cbranch_scc1 .LBB2_7
.LBB2_194:
	s_load_dwordx2 s[0:1], s[4:5], 0x178
	s_add_u32 s3, s4, 0x178
	v_mov_b32_e32 v5, 0
	s_addc_u32 s7, s5, 0
	global_load_dword v6, v5, s[4:5] offset:390
	s_waitcnt lgkmcnt(0)
	s_cmp_lt_u32 s6, s0
	s_cselect_b32 s9, 12, 18
	s_add_u32 s10, s3, s9
	s_addc_u32 s11, s7, 0
	global_load_ushort v5, v5, s[10:11]
	v_mbcnt_lo_u32_b32 v7, -1, 0
	s_waitcnt vmcnt(0)
	v_readfirstlane_b32 s3, v6
	s_lshr_b32 s7, s3, 16
	s_and_b32 s3, s3, 0xffff
	v_readfirstlane_b32 s9, v5
	s_mul_i32 s3, s3, s9
	v_mul_lo_u32 v2, s3, v2
	s_mul_i32 s10, s3, s7
	s_ashr_i32 s11, s10, 31
	s_and_b32 s3, s10, 63
	v_mul_u32_u24_e32 v1, v1, v5
	s_cmp_lg_u32 s3, 0
	s_cselect_b64 s[12:13], -1, 0
	s_cmp_eq_u32 s3, 0
	v_add3_u32 v11, v1, v0, v2
	v_mbcnt_hi_u32_b32 v2, -1, v7
	s_cbranch_scc1 .LBB2_235
; %bb.195:
	v_and_b32_e32 v7, 64, v2
	v_xor_b32_e32 v5, 1, v11
	v_and_or_b32 v0, v5, 63, v7
	v_lshlrev_b32_e32 v1, 2, v0
	ds_bpermute_b32 v0, v1, v3
	ds_bpermute_b32 v1, v1, v4
	v_xor_b32_e32 v8, 2, v11
	v_and_or_b32 v6, v8, 63, v7
	v_cmp_gt_i32_e32 vcc, s10, v5
	v_lshlrev_b32_e32 v6, 2, v6
	s_waitcnt lgkmcnt(0)
	v_add_f64 v[0:1], v[3:4], v[0:1]
	v_xor_b32_e32 v9, 4, v11
	v_and_or_b32 v10, v9, 63, v7
	v_lshlrev_b32_e32 v10, 2, v10
	v_cndmask_b32_e32 v1, v4, v1, vcc
	v_cndmask_b32_e32 v0, v3, v0, vcc
	ds_bpermute_b32 v5, v6, v0
	ds_bpermute_b32 v6, v6, v1
	v_cmp_gt_i32_e32 vcc, s10, v8
	v_xor_b32_e32 v8, 8, v11
	s_waitcnt lgkmcnt(0)
	v_add_f64 v[5:6], v[0:1], v[5:6]
	v_cndmask_b32_e32 v1, v1, v6, vcc
	v_cndmask_b32_e32 v0, v0, v5, vcc
	ds_bpermute_b32 v5, v10, v0
	ds_bpermute_b32 v6, v10, v1
	v_and_or_b32 v10, v8, 63, v7
	v_cmp_gt_i32_e32 vcc, s10, v9
	v_lshlrev_b32_e32 v10, 2, v10
	v_xor_b32_e32 v9, 16, v11
	s_waitcnt lgkmcnt(0)
	v_add_f64 v[5:6], v[0:1], v[5:6]
	v_cndmask_b32_e32 v1, v1, v6, vcc
	v_cndmask_b32_e32 v0, v0, v5, vcc
	ds_bpermute_b32 v5, v10, v0
	ds_bpermute_b32 v6, v10, v1
	v_and_or_b32 v10, v9, 63, v7
	v_cmp_gt_i32_e32 vcc, s10, v8
	v_lshlrev_b32_e32 v10, 2, v10
	v_xor_b32_e32 v8, 32, v11
	s_waitcnt lgkmcnt(0)
	v_add_f64 v[5:6], v[0:1], v[5:6]
	v_and_or_b32 v7, v8, 63, v7
	v_lshlrev_b32_e32 v7, 2, v7
	v_cndmask_b32_e32 v1, v1, v6, vcc
	v_cndmask_b32_e32 v0, v0, v5, vcc
	ds_bpermute_b32 v5, v10, v0
	ds_bpermute_b32 v6, v10, v1
	v_cmp_gt_i32_e32 vcc, s10, v9
	s_waitcnt lgkmcnt(0)
	v_add_f64 v[5:6], v[0:1], v[5:6]
	v_cndmask_b32_e32 v1, v1, v6, vcc
	v_cndmask_b32_e32 v0, v0, v5, vcc
	ds_bpermute_b32 v5, v7, v0
	ds_bpermute_b32 v6, v7, v1
	v_cmp_gt_i32_e32 vcc, s10, v8
	s_waitcnt lgkmcnt(0)
	v_add_f64 v[5:6], v[0:1], v[5:6]
	v_cndmask_b32_e32 v1, v1, v6, vcc
	v_cndmask_b32_e32 v0, v0, v5, vcc
	s_load_dwordx2 s[14:15], s[4:5], 0x28
	s_cbranch_execnz .LBB2_197
.LBB2_196:
	v_and_b32_e32 v0, 64, v2
	v_add_u32_e32 v7, 64, v0
	v_xor_b32_e32 v0, 1, v2
	v_cmp_lt_i32_e32 vcc, v0, v7
	v_cndmask_b32_e32 v0, v2, v0, vcc
	v_lshlrev_b32_e32 v1, 2, v0
	ds_bpermute_b32 v0, v1, v3
	ds_bpermute_b32 v1, v1, v4
	v_xor_b32_e32 v5, 2, v2
	v_cmp_lt_i32_e32 vcc, v5, v7
	v_cndmask_b32_e32 v5, v2, v5, vcc
	v_lshlrev_b32_e32 v6, 2, v5
	s_waitcnt lgkmcnt(0)
	v_add_f64 v[0:1], v[3:4], v[0:1]
	ds_bpermute_b32 v5, v6, v0
	ds_bpermute_b32 v6, v6, v1
	s_waitcnt lgkmcnt(0)
	v_add_f64 v[0:1], v[0:1], v[5:6]
	v_xor_b32_e32 v5, 4, v2
	v_cmp_lt_i32_e32 vcc, v5, v7
	v_cndmask_b32_e32 v5, v2, v5, vcc
	v_lshlrev_b32_e32 v6, 2, v5
	ds_bpermute_b32 v5, v6, v0
	ds_bpermute_b32 v6, v6, v1
	s_waitcnt lgkmcnt(0)
	v_add_f64 v[0:1], v[0:1], v[5:6]
	v_xor_b32_e32 v5, 8, v2
	v_cmp_lt_i32_e32 vcc, v5, v7
	v_cndmask_b32_e32 v5, v2, v5, vcc
	v_lshlrev_b32_e32 v6, 2, v5
	;; [unrolled: 8-line block ×4, first 2 shown]
	ds_bpermute_b32 v5, v6, v0
	ds_bpermute_b32 v6, v6, v1
	s_waitcnt lgkmcnt(0)
	v_add_f64 v[0:1], v[0:1], v[5:6]
.LBB2_197:
	v_ashrrev_i32_e32 v12, 31, v11
	s_load_dword s3, s[4:5], 0x180
	v_lshrrev_b32_e32 v5, 26, v12
	v_add_u32_e32 v5, v11, v5
	v_ashrrev_i32_e32 v13, 6, v5
	v_and_b32_e32 v5, 0xffffffc0, v5
	v_sub_u32_e32 v5, v11, v5
	s_cmp_gt_i32 s10, 64
	s_cselect_b64 s[4:5], -1, 0
	s_cmpk_lt_i32 s10, 0x41
	v_ashrrev_i32_e32 v6, 31, v5
	s_cbranch_scc1 .LBB2_205
; %bb.198:
	v_cmp_eq_u32_e32 vcc, 0, v5
	s_and_saveexec_b64 s[20:21], vcc
; %bb.199:
	v_lshlrev_b32_e32 v7, 3, v13
	ds_write_b64 v7, v[0:1] offset:256
; %bb.200:
	s_or_b64 exec, exec, s[20:21]
	v_add_co_u32_e32 v7, vcc, 63, v11
	v_addc_co_u32_e32 v8, vcc, 0, v12, vcc
	s_mov_b64 s[20:21], 0x7f
	v_cmp_gt_u64_e32 vcc, s[20:21], v[7:8]
	s_waitcnt lgkmcnt(0)
	s_barrier
	s_and_saveexec_b64 s[20:21], vcc
	s_cbranch_execz .LBB2_204
; %bb.201:
	v_lshlrev_b64 v[0:1], 6, v[5:6]
	v_cmp_gt_i64_e32 vcc, s[10:11], v[0:1]
	v_mov_b32_e32 v0, s16
	v_mov_b32_e32 v1, s17
	s_and_saveexec_b64 s[22:23], vcc
; %bb.202:
	v_lshlrev_b32_e32 v0, 3, v5
	ds_read_b64 v[0:1], v0 offset:256
; %bb.203:
	s_or_b64 exec, exec, s[22:23]
	v_and_b32_e32 v7, 64, v2
	v_add_u32_e32 v9, 64, v7
	v_xor_b32_e32 v7, 1, v2
	v_cmp_lt_i32_e32 vcc, v7, v9
	v_cndmask_b32_e32 v7, v2, v7, vcc
	v_lshlrev_b32_e32 v8, 2, v7
	s_waitcnt lgkmcnt(0)
	ds_bpermute_b32 v7, v8, v0
	ds_bpermute_b32 v8, v8, v1
	s_waitcnt lgkmcnt(0)
	v_add_f64 v[0:1], v[0:1], v[7:8]
	v_xor_b32_e32 v7, 2, v2
	v_cmp_lt_i32_e32 vcc, v7, v9
	v_cndmask_b32_e32 v7, v2, v7, vcc
	v_lshlrev_b32_e32 v8, 2, v7
	ds_bpermute_b32 v7, v8, v0
	ds_bpermute_b32 v8, v8, v1
	s_waitcnt lgkmcnt(0)
	v_add_f64 v[0:1], v[0:1], v[7:8]
	v_xor_b32_e32 v7, 4, v2
	v_cmp_lt_i32_e32 vcc, v7, v9
	v_cndmask_b32_e32 v7, v2, v7, vcc
	v_lshlrev_b32_e32 v8, 2, v7
	;; [unrolled: 8-line block ×3, first 2 shown]
	ds_bpermute_b32 v7, v8, v0
	ds_bpermute_b32 v8, v8, v1
	s_waitcnt lgkmcnt(0)
	v_add_f64 v[0:1], v[0:1], v[7:8]
.LBB2_204:
	s_or_b64 exec, exec, s[20:21]
	s_barrier
.LBB2_205:
	s_mul_i32 s2, s0, s2
	s_mul_i32 s0, s1, s0
	s_add_i32 s2, s2, s6
	s_mul_i32 s1, s0, s8
	s_add_i32 s1, s2, s1
	s_waitcnt lgkmcnt(0)
	s_mul_i32 s6, s3, s0
	s_ashr_i32 s0, s1, 31
	s_lshr_b32 s0, s0, 27
	s_add_i32 s8, s1, s0
	s_and_b32 s0, s8, 0xffffffe0
	s_sub_i32 s2, s1, s0
	s_ashr_i32 s0, s6, 31
	s_lshr_b32 s0, s0, 27
	s_add_i32 s0, s6, s0
	s_ashr_i32 s3, s0, 5
	s_andn2_b32 s0, s0, 31
	s_sub_i32 s0, s6, s0
	s_cmp_lt_i32 s2, s0
	s_cselect_b64 s[0:1], -1, 0
	s_cmp_lg_u64 s[0:1], 0
	s_addc_u32 s3, s3, 0
	s_cmp_gt_u32 s3, 1
	v_cmp_eq_u32_e64 s[0:1], 0, v11
	s_cbranch_scc0 .LBB2_226
; %bb.206:
	s_add_i32 s6, s6, 31
	s_ashr_i32 s7, s6, 31
	s_lshr_b32 s7, s7, 27
	s_add_i32 s6, s6, s7
	s_ashr_i32 s20, s6, 5
	s_mul_i32 s20, s20, s2
	s_and_saveexec_b64 s[6:7], s[0:1]
	s_cbranch_execz .LBB2_208
; %bb.207:
	s_ashr_i32 s9, s8, 5
	s_add_i32 s22, s20, s9
	s_ashr_i32 s23, s22, 31
	s_lshl_b32 s8, s2, 3
	s_lshl_b64 s[22:23], s[22:23], 3
	s_add_u32 s22, s14, s22
	s_addc_u32 s23, s15, s23
	s_ashr_i32 s9, s8, 31
	s_lshl_b64 s[8:9], s[8:9], 2
	v_mov_b32_e32 v7, s22
	s_add_u32 s8, s18, s8
	v_mov_b32_e32 v8, s23
	s_addc_u32 s9, s19, s9
	s_add_i32 s18, s3, -1
	flat_store_dwordx2 v[7:8], v[0:1]
	v_mov_b32_e32 v7, 0
	v_mov_b32_e32 v8, s18
	s_waitcnt vmcnt(0) lgkmcnt(0)
	global_atomic_inc v8, v7, v8, s[8:9] glc
	s_waitcnt vmcnt(0)
	v_cmp_eq_u32_e32 vcc, s18, v8
	v_cndmask_b32_e64 v8, 0, 1, vcc
	ds_write_b8 v7, v8 offset:386
.LBB2_208:
	s_or_b64 exec, exec, s[6:7]
	v_mov_b32_e32 v7, 0
	s_waitcnt lgkmcnt(0)
	s_barrier
	ds_read_u8 v7, v7 offset:386
	s_mov_b64 s[6:7], 0
	s_waitcnt lgkmcnt(0)
	v_cmp_eq_u32_e32 vcc, 0, v7
	v_mov_b32_e32 v8, v4
	v_mov_b32_e32 v7, v3
	s_cbranch_vccnz .LBB2_225
; %bb.209:
	v_mov_b32_e32 v7, s16
	v_cmp_gt_u32_e32 vcc, s3, v11
	v_mov_b32_e32 v8, s17
	s_and_saveexec_b64 s[6:7], vcc
	s_cbranch_execz .LBB2_213
; %bb.210:
	v_mov_b32_e32 v7, s16
	s_mov_b64 s[8:9], 0
	v_mov_b32_e32 v8, s17
	v_mov_b32_e32 v10, 0
	;; [unrolled: 1-line block ×4, first 2 shown]
.LBB2_211:                              ; =>This Inner Loop Header: Depth=1
	v_add_u32_e32 v9, s20, v15
	v_lshlrev_b64 v[16:17], 3, v[9:10]
	v_add_u32_e32 v15, s10, v15
	v_add_co_u32_e32 v16, vcc, s14, v16
	v_addc_co_u32_e32 v17, vcc, v14, v17, vcc
	flat_load_dwordx2 v[16:17], v[16:17] glc
	v_cmp_le_u32_e32 vcc, s3, v15
	s_or_b64 s[8:9], vcc, s[8:9]
	s_waitcnt vmcnt(0) lgkmcnt(0)
	v_add_f64 v[7:8], v[7:8], v[16:17]
	s_andn2_b64 exec, exec, s[8:9]
	s_cbranch_execnz .LBB2_211
; %bb.212:
	s_or_b64 exec, exec, s[8:9]
.LBB2_213:
	s_or_b64 exec, exec, s[6:7]
	s_andn2_b64 vcc, exec, s[12:13]
	s_cbranch_vccnz .LBB2_241
; %bb.214:
	v_and_b32_e32 v16, 64, v2
	v_xor_b32_e32 v14, 1, v11
	v_and_or_b32 v9, v14, 63, v16
	v_lshlrev_b32_e32 v10, 2, v9
	ds_bpermute_b32 v9, v10, v7
	ds_bpermute_b32 v10, v10, v8
	v_xor_b32_e32 v17, 2, v11
	v_and_or_b32 v15, v17, 63, v16
	v_cmp_gt_i32_e32 vcc, s10, v14
	v_lshlrev_b32_e32 v15, 2, v15
	s_waitcnt lgkmcnt(0)
	v_add_f64 v[9:10], v[7:8], v[9:10]
	v_xor_b32_e32 v18, 4, v11
	v_and_or_b32 v19, v18, 63, v16
	v_lshlrev_b32_e32 v19, 2, v19
	v_cndmask_b32_e32 v10, v8, v10, vcc
	v_cndmask_b32_e32 v9, v7, v9, vcc
	ds_bpermute_b32 v14, v15, v9
	ds_bpermute_b32 v15, v15, v10
	v_cmp_gt_i32_e32 vcc, s10, v17
	v_xor_b32_e32 v17, 8, v11
	s_waitcnt lgkmcnt(0)
	v_add_f64 v[14:15], v[9:10], v[14:15]
	v_cndmask_b32_e32 v10, v10, v15, vcc
	v_cndmask_b32_e32 v9, v9, v14, vcc
	ds_bpermute_b32 v14, v19, v9
	ds_bpermute_b32 v15, v19, v10
	v_and_or_b32 v19, v17, 63, v16
	v_cmp_gt_i32_e32 vcc, s10, v18
	v_lshlrev_b32_e32 v19, 2, v19
	v_xor_b32_e32 v18, 16, v11
	s_waitcnt lgkmcnt(0)
	v_add_f64 v[14:15], v[9:10], v[14:15]
	v_cndmask_b32_e32 v10, v10, v15, vcc
	v_cndmask_b32_e32 v9, v9, v14, vcc
	ds_bpermute_b32 v14, v19, v9
	ds_bpermute_b32 v15, v19, v10
	v_and_or_b32 v19, v18, 63, v16
	v_cmp_gt_i32_e32 vcc, s10, v17
	v_lshlrev_b32_e32 v19, 2, v19
	v_xor_b32_e32 v17, 32, v11
	s_waitcnt lgkmcnt(0)
	v_add_f64 v[14:15], v[9:10], v[14:15]
	v_and_or_b32 v16, v17, 63, v16
	v_lshlrev_b32_e32 v16, 2, v16
	v_cndmask_b32_e32 v10, v10, v15, vcc
	v_cndmask_b32_e32 v9, v9, v14, vcc
	ds_bpermute_b32 v14, v19, v9
	ds_bpermute_b32 v15, v19, v10
	v_cmp_gt_i32_e32 vcc, s10, v18
	s_waitcnt lgkmcnt(0)
	v_add_f64 v[14:15], v[9:10], v[14:15]
	v_cndmask_b32_e32 v10, v10, v15, vcc
	v_cndmask_b32_e32 v9, v9, v14, vcc
	ds_bpermute_b32 v14, v16, v9
	ds_bpermute_b32 v15, v16, v10
	v_cmp_gt_i32_e32 vcc, s10, v17
	s_waitcnt lgkmcnt(0)
	v_add_f64 v[14:15], v[9:10], v[14:15]
	v_cndmask_b32_e32 v10, v10, v15, vcc
	v_cndmask_b32_e32 v9, v9, v14, vcc
	s_cbranch_execnz .LBB2_216
.LBB2_215:
	v_and_b32_e32 v9, 64, v2
	v_add_u32_e32 v14, 64, v9
	v_xor_b32_e32 v9, 1, v2
	v_cmp_lt_i32_e32 vcc, v9, v14
	v_cndmask_b32_e32 v9, v2, v9, vcc
	v_lshlrev_b32_e32 v10, 2, v9
	ds_bpermute_b32 v9, v10, v7
	ds_bpermute_b32 v10, v10, v8
	s_waitcnt lgkmcnt(0)
	v_add_f64 v[7:8], v[7:8], v[9:10]
	v_xor_b32_e32 v9, 2, v2
	v_cmp_lt_i32_e32 vcc, v9, v14
	v_cndmask_b32_e32 v9, v2, v9, vcc
	v_lshlrev_b32_e32 v10, 2, v9
	ds_bpermute_b32 v9, v10, v7
	ds_bpermute_b32 v10, v10, v8
	s_waitcnt lgkmcnt(0)
	v_add_f64 v[7:8], v[7:8], v[9:10]
	;; [unrolled: 8-line block ×6, first 2 shown]
.LBB2_216:
	s_andn2_b64 vcc, exec, s[4:5]
	s_cbranch_vccnz .LBB2_224
; %bb.217:
	v_cmp_eq_u32_e32 vcc, 0, v5
	s_and_saveexec_b64 s[4:5], vcc
; %bb.218:
	v_lshlrev_b32_e32 v7, 3, v13
	ds_write_b64 v7, v[9:10] offset:256
; %bb.219:
	s_or_b64 exec, exec, s[4:5]
	v_add_co_u32_e32 v7, vcc, 63, v11
	v_addc_co_u32_e32 v8, vcc, 0, v12, vcc
	s_mov_b64 s[4:5], 0x7f
	v_cmp_gt_u64_e32 vcc, s[4:5], v[7:8]
	s_waitcnt lgkmcnt(0)
	s_barrier
	s_and_saveexec_b64 s[4:5], vcc
	s_cbranch_execz .LBB2_223
; %bb.220:
	v_lshlrev_b64 v[6:7], 6, v[5:6]
	v_cmp_gt_i64_e32 vcc, s[10:11], v[6:7]
	v_mov_b32_e32 v6, s16
	v_mov_b32_e32 v7, s17
	s_and_saveexec_b64 s[6:7], vcc
; %bb.221:
	v_lshlrev_b32_e32 v5, 3, v5
	ds_read_b64 v[6:7], v5 offset:256
; %bb.222:
	s_or_b64 exec, exec, s[6:7]
	v_and_b32_e32 v5, 64, v2
	v_add_u32_e32 v10, 64, v5
	v_xor_b32_e32 v5, 1, v2
	v_cmp_lt_i32_e32 vcc, v5, v10
	v_cndmask_b32_e32 v5, v2, v5, vcc
	v_lshlrev_b32_e32 v5, 2, v5
	s_waitcnt lgkmcnt(0)
	ds_bpermute_b32 v8, v5, v6
	ds_bpermute_b32 v9, v5, v7
	s_waitcnt lgkmcnt(0)
	v_add_f64 v[5:6], v[6:7], v[8:9]
	v_xor_b32_e32 v7, 2, v2
	v_cmp_lt_i32_e32 vcc, v7, v10
	v_cndmask_b32_e32 v7, v2, v7, vcc
	v_lshlrev_b32_e32 v8, 2, v7
	ds_bpermute_b32 v7, v8, v5
	ds_bpermute_b32 v8, v8, v6
	s_waitcnt lgkmcnt(0)
	v_add_f64 v[5:6], v[5:6], v[7:8]
	v_xor_b32_e32 v7, 4, v2
	v_cmp_lt_i32_e32 vcc, v7, v10
	v_cndmask_b32_e32 v7, v2, v7, vcc
	v_lshlrev_b32_e32 v8, 2, v7
	;; [unrolled: 8-line block ×3, first 2 shown]
	ds_bpermute_b32 v7, v2, v5
	ds_bpermute_b32 v8, v2, v6
	s_waitcnt lgkmcnt(0)
	v_add_f64 v[9:10], v[5:6], v[7:8]
.LBB2_223:
	s_or_b64 exec, exec, s[4:5]
	s_barrier
.LBB2_224:
	v_mov_b32_e32 v2, 0
	ds_read_u8 v2, v2 offset:386
	v_cndmask_b32_e64 v8, v4, v10, s[0:1]
	v_cndmask_b32_e64 v7, v3, v9, s[0:1]
	s_waitcnt lgkmcnt(0)
	v_and_b32_e32 v2, 1, v2
	v_cmp_eq_u32_e64 s[6:7], 1, v2
.LBB2_225:
	s_and_b64 s[4:5], s[0:1], s[6:7]
	s_branch .LBB2_228
.LBB2_226:
                                        ; implicit-def: $sgpr4_sgpr5
                                        ; implicit-def: $vgpr7_vgpr8
	s_cbranch_execz .LBB2_228
; %bb.227:
	v_cndmask_b32_e64 v8, v4, v1, s[0:1]
	v_cndmask_b32_e64 v7, v3, v0, s[0:1]
	s_andn2_b64 s[4:5], s[4:5], exec
	s_and_b64 s[0:1], s[0:1], exec
	s_or_b64 s[4:5], s[4:5], s[0:1]
.LBB2_228:
	s_and_saveexec_b64 s[0:1], s[4:5]
	s_cbranch_execz .LBB2_7
; %bb.229:
	s_ashr_i32 s3, s2, 31
	s_lshl_b64 s[0:1], s[2:3], 3
	s_add_u32 s0, s26, s0
	s_addc_u32 s1, s27, s1
	v_mov_b32_e32 v0, s0
	v_mov_b32_e32 v1, s1
	flat_store_dwordx2 v[0:1], v[7:8]
	s_endpgm
.LBB2_230:
                                        ; implicit-def: $vgpr15_vgpr16
	s_load_dwordx2 s[52:53], s[4:5], 0x150
	s_branch .LBB2_11
.LBB2_231:
                                        ; implicit-def: $vgpr13_vgpr14
	s_load_dwordx2 s[48:49], s[4:5], 0x118
	s_branch .LBB2_48
.LBB2_232:
                                        ; implicit-def: $vgpr11_vgpr12
	s_load_dwordx2 s[40:41], s[4:5], 0xd8
	s_branch .LBB2_85
.LBB2_233:
                                        ; implicit-def: $vgpr9_vgpr10
	s_load_dwordx2 s[40:41], s[4:5], 0xa0
	s_branch .LBB2_122
.LBB2_234:
                                        ; implicit-def: $vgpr7_vgpr8
	s_load_dwordx2 s[36:37], s[4:5], 0x68
	s_branch .LBB2_159
.LBB2_235:
                                        ; implicit-def: $vgpr0_vgpr1
	s_load_dwordx2 s[14:15], s[4:5], 0x28
	s_branch .LBB2_196
.LBB2_236:
                                        ; implicit-def: $vgpr21_vgpr22
	s_branch .LBB2_30
.LBB2_237:
                                        ; implicit-def: $vgpr19_vgpr20
	s_branch .LBB2_67
.LBB2_238:
                                        ; implicit-def: $vgpr17_vgpr18
	s_branch .LBB2_104
.LBB2_239:
                                        ; implicit-def: $vgpr15_vgpr16
	s_branch .LBB2_141
.LBB2_240:
                                        ; implicit-def: $vgpr13_vgpr14
	s_branch .LBB2_178
.LBB2_241:
                                        ; implicit-def: $vgpr9_vgpr10
	s_branch .LBB2_215
	.section	.rodata,"a",@progbits
	.p2align	6, 0x0
	.amdhsa_kernel _ZN4RAJA6policy3hip4impl18forallp_hip_kernelINS1_8hip_execINS_17iteration_mapping6DirectENS_3hip11IndexGlobalILNS_9named_dimE0ELi256ELi0EEENS7_40AvoidDeviceMaxThreadOccupancyConcretizerINS7_34FractionOffsetOccupancyConcretizerINS_8FractionImLm1ELm1EEELln1EEEEELb1EEENS_9Iterators16numeric_iteratorIllPlEEZN8rajaperf5basic13REDUCE_STRUCT17runHipVariantRAJAILm256ENSM_13gpu_algorithm19block_device_helperENSM_11gpu_mapping20global_direct_helperEEEvNSM_9VariantIDEEUllE_lNS_4expt15ForallParamPackIJEEES6_SA_TnNSt9enable_ifIXaasr3std10is_base_ofINS5_10DirectBaseET4_EE5valuegtsrT5_10block_sizeLi0EEmE4typeELm256EEEvT1_T0_T2_T3_
		.amdhsa_group_segment_fixed_size 387
		.amdhsa_private_segment_fixed_size 0
		.amdhsa_kernarg_size 632
		.amdhsa_user_sgpr_count 6
		.amdhsa_user_sgpr_private_segment_buffer 1
		.amdhsa_user_sgpr_dispatch_ptr 0
		.amdhsa_user_sgpr_queue_ptr 0
		.amdhsa_user_sgpr_kernarg_segment_ptr 1
		.amdhsa_user_sgpr_dispatch_id 0
		.amdhsa_user_sgpr_flat_scratch_init 0
		.amdhsa_user_sgpr_private_segment_size 0
		.amdhsa_uses_dynamic_stack 0
		.amdhsa_system_sgpr_private_segment_wavefront_offset 0
		.amdhsa_system_sgpr_workgroup_id_x 1
		.amdhsa_system_sgpr_workgroup_id_y 1
		.amdhsa_system_sgpr_workgroup_id_z 1
		.amdhsa_system_sgpr_workgroup_info 0
		.amdhsa_system_vgpr_workitem_id 2
		.amdhsa_next_free_vgpr 33
		.amdhsa_next_free_sgpr 58
		.amdhsa_reserve_vcc 1
		.amdhsa_reserve_flat_scratch 0
		.amdhsa_float_round_mode_32 0
		.amdhsa_float_round_mode_16_64 0
		.amdhsa_float_denorm_mode_32 3
		.amdhsa_float_denorm_mode_16_64 3
		.amdhsa_dx10_clamp 1
		.amdhsa_ieee_mode 1
		.amdhsa_fp16_overflow 0
		.amdhsa_exception_fp_ieee_invalid_op 0
		.amdhsa_exception_fp_denorm_src 0
		.amdhsa_exception_fp_ieee_div_zero 0
		.amdhsa_exception_fp_ieee_overflow 0
		.amdhsa_exception_fp_ieee_underflow 0
		.amdhsa_exception_fp_ieee_inexact 0
		.amdhsa_exception_int_div_zero 0
	.end_amdhsa_kernel
	.section	.text._ZN4RAJA6policy3hip4impl18forallp_hip_kernelINS1_8hip_execINS_17iteration_mapping6DirectENS_3hip11IndexGlobalILNS_9named_dimE0ELi256ELi0EEENS7_40AvoidDeviceMaxThreadOccupancyConcretizerINS7_34FractionOffsetOccupancyConcretizerINS_8FractionImLm1ELm1EEELln1EEEEELb1EEENS_9Iterators16numeric_iteratorIllPlEEZN8rajaperf5basic13REDUCE_STRUCT17runHipVariantRAJAILm256ENSM_13gpu_algorithm19block_device_helperENSM_11gpu_mapping20global_direct_helperEEEvNSM_9VariantIDEEUllE_lNS_4expt15ForallParamPackIJEEES6_SA_TnNSt9enable_ifIXaasr3std10is_base_ofINS5_10DirectBaseET4_EE5valuegtsrT5_10block_sizeLi0EEmE4typeELm256EEEvT1_T0_T2_T3_,"axG",@progbits,_ZN4RAJA6policy3hip4impl18forallp_hip_kernelINS1_8hip_execINS_17iteration_mapping6DirectENS_3hip11IndexGlobalILNS_9named_dimE0ELi256ELi0EEENS7_40AvoidDeviceMaxThreadOccupancyConcretizerINS7_34FractionOffsetOccupancyConcretizerINS_8FractionImLm1ELm1EEELln1EEEEELb1EEENS_9Iterators16numeric_iteratorIllPlEEZN8rajaperf5basic13REDUCE_STRUCT17runHipVariantRAJAILm256ENSM_13gpu_algorithm19block_device_helperENSM_11gpu_mapping20global_direct_helperEEEvNSM_9VariantIDEEUllE_lNS_4expt15ForallParamPackIJEEES6_SA_TnNSt9enable_ifIXaasr3std10is_base_ofINS5_10DirectBaseET4_EE5valuegtsrT5_10block_sizeLi0EEmE4typeELm256EEEvT1_T0_T2_T3_,comdat
.Lfunc_end2:
	.size	_ZN4RAJA6policy3hip4impl18forallp_hip_kernelINS1_8hip_execINS_17iteration_mapping6DirectENS_3hip11IndexGlobalILNS_9named_dimE0ELi256ELi0EEENS7_40AvoidDeviceMaxThreadOccupancyConcretizerINS7_34FractionOffsetOccupancyConcretizerINS_8FractionImLm1ELm1EEELln1EEEEELb1EEENS_9Iterators16numeric_iteratorIllPlEEZN8rajaperf5basic13REDUCE_STRUCT17runHipVariantRAJAILm256ENSM_13gpu_algorithm19block_device_helperENSM_11gpu_mapping20global_direct_helperEEEvNSM_9VariantIDEEUllE_lNS_4expt15ForallParamPackIJEEES6_SA_TnNSt9enable_ifIXaasr3std10is_base_ofINS5_10DirectBaseET4_EE5valuegtsrT5_10block_sizeLi0EEmE4typeELm256EEEvT1_T0_T2_T3_, .Lfunc_end2-_ZN4RAJA6policy3hip4impl18forallp_hip_kernelINS1_8hip_execINS_17iteration_mapping6DirectENS_3hip11IndexGlobalILNS_9named_dimE0ELi256ELi0EEENS7_40AvoidDeviceMaxThreadOccupancyConcretizerINS7_34FractionOffsetOccupancyConcretizerINS_8FractionImLm1ELm1EEELln1EEEEELb1EEENS_9Iterators16numeric_iteratorIllPlEEZN8rajaperf5basic13REDUCE_STRUCT17runHipVariantRAJAILm256ENSM_13gpu_algorithm19block_device_helperENSM_11gpu_mapping20global_direct_helperEEEvNSM_9VariantIDEEUllE_lNS_4expt15ForallParamPackIJEEES6_SA_TnNSt9enable_ifIXaasr3std10is_base_ofINS5_10DirectBaseET4_EE5valuegtsrT5_10block_sizeLi0EEmE4typeELm256EEEvT1_T0_T2_T3_
                                        ; -- End function
	.set _ZN4RAJA6policy3hip4impl18forallp_hip_kernelINS1_8hip_execINS_17iteration_mapping6DirectENS_3hip11IndexGlobalILNS_9named_dimE0ELi256ELi0EEENS7_40AvoidDeviceMaxThreadOccupancyConcretizerINS7_34FractionOffsetOccupancyConcretizerINS_8FractionImLm1ELm1EEELln1EEEEELb1EEENS_9Iterators16numeric_iteratorIllPlEEZN8rajaperf5basic13REDUCE_STRUCT17runHipVariantRAJAILm256ENSM_13gpu_algorithm19block_device_helperENSM_11gpu_mapping20global_direct_helperEEEvNSM_9VariantIDEEUllE_lNS_4expt15ForallParamPackIJEEES6_SA_TnNSt9enable_ifIXaasr3std10is_base_ofINS5_10DirectBaseET4_EE5valuegtsrT5_10block_sizeLi0EEmE4typeELm256EEEvT1_T0_T2_T3_.num_vgpr, 33
	.set _ZN4RAJA6policy3hip4impl18forallp_hip_kernelINS1_8hip_execINS_17iteration_mapping6DirectENS_3hip11IndexGlobalILNS_9named_dimE0ELi256ELi0EEENS7_40AvoidDeviceMaxThreadOccupancyConcretizerINS7_34FractionOffsetOccupancyConcretizerINS_8FractionImLm1ELm1EEELln1EEEEELb1EEENS_9Iterators16numeric_iteratorIllPlEEZN8rajaperf5basic13REDUCE_STRUCT17runHipVariantRAJAILm256ENSM_13gpu_algorithm19block_device_helperENSM_11gpu_mapping20global_direct_helperEEEvNSM_9VariantIDEEUllE_lNS_4expt15ForallParamPackIJEEES6_SA_TnNSt9enable_ifIXaasr3std10is_base_ofINS5_10DirectBaseET4_EE5valuegtsrT5_10block_sizeLi0EEmE4typeELm256EEEvT1_T0_T2_T3_.num_agpr, 0
	.set _ZN4RAJA6policy3hip4impl18forallp_hip_kernelINS1_8hip_execINS_17iteration_mapping6DirectENS_3hip11IndexGlobalILNS_9named_dimE0ELi256ELi0EEENS7_40AvoidDeviceMaxThreadOccupancyConcretizerINS7_34FractionOffsetOccupancyConcretizerINS_8FractionImLm1ELm1EEELln1EEEEELb1EEENS_9Iterators16numeric_iteratorIllPlEEZN8rajaperf5basic13REDUCE_STRUCT17runHipVariantRAJAILm256ENSM_13gpu_algorithm19block_device_helperENSM_11gpu_mapping20global_direct_helperEEEvNSM_9VariantIDEEUllE_lNS_4expt15ForallParamPackIJEEES6_SA_TnNSt9enable_ifIXaasr3std10is_base_ofINS5_10DirectBaseET4_EE5valuegtsrT5_10block_sizeLi0EEmE4typeELm256EEEvT1_T0_T2_T3_.numbered_sgpr, 58
	.set _ZN4RAJA6policy3hip4impl18forallp_hip_kernelINS1_8hip_execINS_17iteration_mapping6DirectENS_3hip11IndexGlobalILNS_9named_dimE0ELi256ELi0EEENS7_40AvoidDeviceMaxThreadOccupancyConcretizerINS7_34FractionOffsetOccupancyConcretizerINS_8FractionImLm1ELm1EEELln1EEEEELb1EEENS_9Iterators16numeric_iteratorIllPlEEZN8rajaperf5basic13REDUCE_STRUCT17runHipVariantRAJAILm256ENSM_13gpu_algorithm19block_device_helperENSM_11gpu_mapping20global_direct_helperEEEvNSM_9VariantIDEEUllE_lNS_4expt15ForallParamPackIJEEES6_SA_TnNSt9enable_ifIXaasr3std10is_base_ofINS5_10DirectBaseET4_EE5valuegtsrT5_10block_sizeLi0EEmE4typeELm256EEEvT1_T0_T2_T3_.num_named_barrier, 0
	.set _ZN4RAJA6policy3hip4impl18forallp_hip_kernelINS1_8hip_execINS_17iteration_mapping6DirectENS_3hip11IndexGlobalILNS_9named_dimE0ELi256ELi0EEENS7_40AvoidDeviceMaxThreadOccupancyConcretizerINS7_34FractionOffsetOccupancyConcretizerINS_8FractionImLm1ELm1EEELln1EEEEELb1EEENS_9Iterators16numeric_iteratorIllPlEEZN8rajaperf5basic13REDUCE_STRUCT17runHipVariantRAJAILm256ENSM_13gpu_algorithm19block_device_helperENSM_11gpu_mapping20global_direct_helperEEEvNSM_9VariantIDEEUllE_lNS_4expt15ForallParamPackIJEEES6_SA_TnNSt9enable_ifIXaasr3std10is_base_ofINS5_10DirectBaseET4_EE5valuegtsrT5_10block_sizeLi0EEmE4typeELm256EEEvT1_T0_T2_T3_.private_seg_size, 0
	.set _ZN4RAJA6policy3hip4impl18forallp_hip_kernelINS1_8hip_execINS_17iteration_mapping6DirectENS_3hip11IndexGlobalILNS_9named_dimE0ELi256ELi0EEENS7_40AvoidDeviceMaxThreadOccupancyConcretizerINS7_34FractionOffsetOccupancyConcretizerINS_8FractionImLm1ELm1EEELln1EEEEELb1EEENS_9Iterators16numeric_iteratorIllPlEEZN8rajaperf5basic13REDUCE_STRUCT17runHipVariantRAJAILm256ENSM_13gpu_algorithm19block_device_helperENSM_11gpu_mapping20global_direct_helperEEEvNSM_9VariantIDEEUllE_lNS_4expt15ForallParamPackIJEEES6_SA_TnNSt9enable_ifIXaasr3std10is_base_ofINS5_10DirectBaseET4_EE5valuegtsrT5_10block_sizeLi0EEmE4typeELm256EEEvT1_T0_T2_T3_.uses_vcc, 1
	.set _ZN4RAJA6policy3hip4impl18forallp_hip_kernelINS1_8hip_execINS_17iteration_mapping6DirectENS_3hip11IndexGlobalILNS_9named_dimE0ELi256ELi0EEENS7_40AvoidDeviceMaxThreadOccupancyConcretizerINS7_34FractionOffsetOccupancyConcretizerINS_8FractionImLm1ELm1EEELln1EEEEELb1EEENS_9Iterators16numeric_iteratorIllPlEEZN8rajaperf5basic13REDUCE_STRUCT17runHipVariantRAJAILm256ENSM_13gpu_algorithm19block_device_helperENSM_11gpu_mapping20global_direct_helperEEEvNSM_9VariantIDEEUllE_lNS_4expt15ForallParamPackIJEEES6_SA_TnNSt9enable_ifIXaasr3std10is_base_ofINS5_10DirectBaseET4_EE5valuegtsrT5_10block_sizeLi0EEmE4typeELm256EEEvT1_T0_T2_T3_.uses_flat_scratch, 0
	.set _ZN4RAJA6policy3hip4impl18forallp_hip_kernelINS1_8hip_execINS_17iteration_mapping6DirectENS_3hip11IndexGlobalILNS_9named_dimE0ELi256ELi0EEENS7_40AvoidDeviceMaxThreadOccupancyConcretizerINS7_34FractionOffsetOccupancyConcretizerINS_8FractionImLm1ELm1EEELln1EEEEELb1EEENS_9Iterators16numeric_iteratorIllPlEEZN8rajaperf5basic13REDUCE_STRUCT17runHipVariantRAJAILm256ENSM_13gpu_algorithm19block_device_helperENSM_11gpu_mapping20global_direct_helperEEEvNSM_9VariantIDEEUllE_lNS_4expt15ForallParamPackIJEEES6_SA_TnNSt9enable_ifIXaasr3std10is_base_ofINS5_10DirectBaseET4_EE5valuegtsrT5_10block_sizeLi0EEmE4typeELm256EEEvT1_T0_T2_T3_.has_dyn_sized_stack, 0
	.set _ZN4RAJA6policy3hip4impl18forallp_hip_kernelINS1_8hip_execINS_17iteration_mapping6DirectENS_3hip11IndexGlobalILNS_9named_dimE0ELi256ELi0EEENS7_40AvoidDeviceMaxThreadOccupancyConcretizerINS7_34FractionOffsetOccupancyConcretizerINS_8FractionImLm1ELm1EEELln1EEEEELb1EEENS_9Iterators16numeric_iteratorIllPlEEZN8rajaperf5basic13REDUCE_STRUCT17runHipVariantRAJAILm256ENSM_13gpu_algorithm19block_device_helperENSM_11gpu_mapping20global_direct_helperEEEvNSM_9VariantIDEEUllE_lNS_4expt15ForallParamPackIJEEES6_SA_TnNSt9enable_ifIXaasr3std10is_base_ofINS5_10DirectBaseET4_EE5valuegtsrT5_10block_sizeLi0EEmE4typeELm256EEEvT1_T0_T2_T3_.has_recursion, 0
	.set _ZN4RAJA6policy3hip4impl18forallp_hip_kernelINS1_8hip_execINS_17iteration_mapping6DirectENS_3hip11IndexGlobalILNS_9named_dimE0ELi256ELi0EEENS7_40AvoidDeviceMaxThreadOccupancyConcretizerINS7_34FractionOffsetOccupancyConcretizerINS_8FractionImLm1ELm1EEELln1EEEEELb1EEENS_9Iterators16numeric_iteratorIllPlEEZN8rajaperf5basic13REDUCE_STRUCT17runHipVariantRAJAILm256ENSM_13gpu_algorithm19block_device_helperENSM_11gpu_mapping20global_direct_helperEEEvNSM_9VariantIDEEUllE_lNS_4expt15ForallParamPackIJEEES6_SA_TnNSt9enable_ifIXaasr3std10is_base_ofINS5_10DirectBaseET4_EE5valuegtsrT5_10block_sizeLi0EEmE4typeELm256EEEvT1_T0_T2_T3_.has_indirect_call, 0
	.section	.AMDGPU.csdata,"",@progbits
; Kernel info:
; codeLenInByte = 18300
; TotalNumSgprs: 62
; NumVgprs: 33
; ScratchSize: 0
; MemoryBound: 0
; FloatMode: 240
; IeeeMode: 1
; LDSByteSize: 387 bytes/workgroup (compile time only)
; SGPRBlocks: 7
; VGPRBlocks: 8
; NumSGPRsForWavesPerEU: 62
; NumVGPRsForWavesPerEU: 33
; Occupancy: 7
; WaveLimiterHint : 1
; COMPUTE_PGM_RSRC2:SCRATCH_EN: 0
; COMPUTE_PGM_RSRC2:USER_SGPR: 6
; COMPUTE_PGM_RSRC2:TRAP_HANDLER: 0
; COMPUTE_PGM_RSRC2:TGID_X_EN: 1
; COMPUTE_PGM_RSRC2:TGID_Y_EN: 1
; COMPUTE_PGM_RSRC2:TGID_Z_EN: 1
; COMPUTE_PGM_RSRC2:TIDIG_COMP_CNT: 2
	.section	.text._ZN4RAJA6policy3hip4impl18forallp_hip_kernelINS1_8hip_execINS_17iteration_mapping6DirectENS_3hip11IndexGlobalILNS_9named_dimE0ELi256ELi0EEENS7_40AvoidDeviceMaxThreadOccupancyConcretizerINS7_34FractionOffsetOccupancyConcretizerINS_8FractionImLm1ELm1EEELln1EEEEELb1EEENS_9Iterators16numeric_iteratorIllPlEEZN8rajaperf5basic13REDUCE_STRUCT26runHipVariantRAJANewReduceILm256ENSM_11gpu_mapping20global_direct_helperEEEvNSM_9VariantIDEEUllRNS_4expt5ValOpIdNS_9operators4plusEEESY_RNSU_IdNSV_7minimumEEES11_RNSU_IdNSV_7maximumEEES14_E_lNST_15ForallParamPackIJNST_6detail7ReducerINSW_IdddEEdSX_EES1A_NS18_INSZ_IdddEEdS10_EES1C_NS18_INS12_IdddEEdS13_EES1E_EEES6_SA_TnNSt9enable_ifIXaasr3std10is_base_ofINS5_10DirectBaseET4_EE5valuegtsrT5_10block_sizeLi0EEmE4typeELm256EEEvT1_T0_T2_T3_,"axG",@progbits,_ZN4RAJA6policy3hip4impl18forallp_hip_kernelINS1_8hip_execINS_17iteration_mapping6DirectENS_3hip11IndexGlobalILNS_9named_dimE0ELi256ELi0EEENS7_40AvoidDeviceMaxThreadOccupancyConcretizerINS7_34FractionOffsetOccupancyConcretizerINS_8FractionImLm1ELm1EEELln1EEEEELb1EEENS_9Iterators16numeric_iteratorIllPlEEZN8rajaperf5basic13REDUCE_STRUCT26runHipVariantRAJANewReduceILm256ENSM_11gpu_mapping20global_direct_helperEEEvNSM_9VariantIDEEUllRNS_4expt5ValOpIdNS_9operators4plusEEESY_RNSU_IdNSV_7minimumEEES11_RNSU_IdNSV_7maximumEEES14_E_lNST_15ForallParamPackIJNST_6detail7ReducerINSW_IdddEEdSX_EES1A_NS18_INSZ_IdddEEdS10_EES1C_NS18_INS12_IdddEEdS13_EES1E_EEES6_SA_TnNSt9enable_ifIXaasr3std10is_base_ofINS5_10DirectBaseET4_EE5valuegtsrT5_10block_sizeLi0EEmE4typeELm256EEEvT1_T0_T2_T3_,comdat
	.protected	_ZN4RAJA6policy3hip4impl18forallp_hip_kernelINS1_8hip_execINS_17iteration_mapping6DirectENS_3hip11IndexGlobalILNS_9named_dimE0ELi256ELi0EEENS7_40AvoidDeviceMaxThreadOccupancyConcretizerINS7_34FractionOffsetOccupancyConcretizerINS_8FractionImLm1ELm1EEELln1EEEEELb1EEENS_9Iterators16numeric_iteratorIllPlEEZN8rajaperf5basic13REDUCE_STRUCT26runHipVariantRAJANewReduceILm256ENSM_11gpu_mapping20global_direct_helperEEEvNSM_9VariantIDEEUllRNS_4expt5ValOpIdNS_9operators4plusEEESY_RNSU_IdNSV_7minimumEEES11_RNSU_IdNSV_7maximumEEES14_E_lNST_15ForallParamPackIJNST_6detail7ReducerINSW_IdddEEdSX_EES1A_NS18_INSZ_IdddEEdS10_EES1C_NS18_INS12_IdddEEdS13_EES1E_EEES6_SA_TnNSt9enable_ifIXaasr3std10is_base_ofINS5_10DirectBaseET4_EE5valuegtsrT5_10block_sizeLi0EEmE4typeELm256EEEvT1_T0_T2_T3_ ; -- Begin function _ZN4RAJA6policy3hip4impl18forallp_hip_kernelINS1_8hip_execINS_17iteration_mapping6DirectENS_3hip11IndexGlobalILNS_9named_dimE0ELi256ELi0EEENS7_40AvoidDeviceMaxThreadOccupancyConcretizerINS7_34FractionOffsetOccupancyConcretizerINS_8FractionImLm1ELm1EEELln1EEEEELb1EEENS_9Iterators16numeric_iteratorIllPlEEZN8rajaperf5basic13REDUCE_STRUCT26runHipVariantRAJANewReduceILm256ENSM_11gpu_mapping20global_direct_helperEEEvNSM_9VariantIDEEUllRNS_4expt5ValOpIdNS_9operators4plusEEESY_RNSU_IdNSV_7minimumEEES11_RNSU_IdNSV_7maximumEEES14_E_lNST_15ForallParamPackIJNST_6detail7ReducerINSW_IdddEEdSX_EES1A_NS18_INSZ_IdddEEdS10_EES1C_NS18_INS12_IdddEEdS13_EES1E_EEES6_SA_TnNSt9enable_ifIXaasr3std10is_base_ofINS5_10DirectBaseET4_EE5valuegtsrT5_10block_sizeLi0EEmE4typeELm256EEEvT1_T0_T2_T3_
	.globl	_ZN4RAJA6policy3hip4impl18forallp_hip_kernelINS1_8hip_execINS_17iteration_mapping6DirectENS_3hip11IndexGlobalILNS_9named_dimE0ELi256ELi0EEENS7_40AvoidDeviceMaxThreadOccupancyConcretizerINS7_34FractionOffsetOccupancyConcretizerINS_8FractionImLm1ELm1EEELln1EEEEELb1EEENS_9Iterators16numeric_iteratorIllPlEEZN8rajaperf5basic13REDUCE_STRUCT26runHipVariantRAJANewReduceILm256ENSM_11gpu_mapping20global_direct_helperEEEvNSM_9VariantIDEEUllRNS_4expt5ValOpIdNS_9operators4plusEEESY_RNSU_IdNSV_7minimumEEES11_RNSU_IdNSV_7maximumEEES14_E_lNST_15ForallParamPackIJNST_6detail7ReducerINSW_IdddEEdSX_EES1A_NS18_INSZ_IdddEEdS10_EES1C_NS18_INS12_IdddEEdS13_EES1E_EEES6_SA_TnNSt9enable_ifIXaasr3std10is_base_ofINS5_10DirectBaseET4_EE5valuegtsrT5_10block_sizeLi0EEmE4typeELm256EEEvT1_T0_T2_T3_
	.p2align	8
	.type	_ZN4RAJA6policy3hip4impl18forallp_hip_kernelINS1_8hip_execINS_17iteration_mapping6DirectENS_3hip11IndexGlobalILNS_9named_dimE0ELi256ELi0EEENS7_40AvoidDeviceMaxThreadOccupancyConcretizerINS7_34FractionOffsetOccupancyConcretizerINS_8FractionImLm1ELm1EEELln1EEEEELb1EEENS_9Iterators16numeric_iteratorIllPlEEZN8rajaperf5basic13REDUCE_STRUCT26runHipVariantRAJANewReduceILm256ENSM_11gpu_mapping20global_direct_helperEEEvNSM_9VariantIDEEUllRNS_4expt5ValOpIdNS_9operators4plusEEESY_RNSU_IdNSV_7minimumEEES11_RNSU_IdNSV_7maximumEEES14_E_lNST_15ForallParamPackIJNST_6detail7ReducerINSW_IdddEEdSX_EES1A_NS18_INSZ_IdddEEdS10_EES1C_NS18_INS12_IdddEEdS13_EES1E_EEES6_SA_TnNSt9enable_ifIXaasr3std10is_base_ofINS5_10DirectBaseET4_EE5valuegtsrT5_10block_sizeLi0EEmE4typeELm256EEEvT1_T0_T2_T3_,@function
_ZN4RAJA6policy3hip4impl18forallp_hip_kernelINS1_8hip_execINS_17iteration_mapping6DirectENS_3hip11IndexGlobalILNS_9named_dimE0ELi256ELi0EEENS7_40AvoidDeviceMaxThreadOccupancyConcretizerINS7_34FractionOffsetOccupancyConcretizerINS_8FractionImLm1ELm1EEELln1EEEEELb1EEENS_9Iterators16numeric_iteratorIllPlEEZN8rajaperf5basic13REDUCE_STRUCT26runHipVariantRAJANewReduceILm256ENSM_11gpu_mapping20global_direct_helperEEEvNSM_9VariantIDEEUllRNS_4expt5ValOpIdNS_9operators4plusEEESY_RNSU_IdNSV_7minimumEEES11_RNSU_IdNSV_7maximumEEES14_E_lNST_15ForallParamPackIJNST_6detail7ReducerINSW_IdddEEdSX_EES1A_NS18_INSZ_IdddEEdS10_EES1C_NS18_INS12_IdddEEdS13_EES1E_EEES6_SA_TnNSt9enable_ifIXaasr3std10is_base_ofINS5_10DirectBaseET4_EE5valuegtsrT5_10block_sizeLi0EEmE4typeELm256EEEvT1_T0_T2_T3_: ; @_ZN4RAJA6policy3hip4impl18forallp_hip_kernelINS1_8hip_execINS_17iteration_mapping6DirectENS_3hip11IndexGlobalILNS_9named_dimE0ELi256ELi0EEENS7_40AvoidDeviceMaxThreadOccupancyConcretizerINS7_34FractionOffsetOccupancyConcretizerINS_8FractionImLm1ELm1EEELln1EEEEELb1EEENS_9Iterators16numeric_iteratorIllPlEEZN8rajaperf5basic13REDUCE_STRUCT26runHipVariantRAJANewReduceILm256ENSM_11gpu_mapping20global_direct_helperEEEvNSM_9VariantIDEEUllRNS_4expt5ValOpIdNS_9operators4plusEEESY_RNSU_IdNSV_7minimumEEES11_RNSU_IdNSV_7maximumEEES14_E_lNST_15ForallParamPackIJNST_6detail7ReducerINSW_IdddEEdSX_EES1A_NS18_INSZ_IdddEEdS10_EES1C_NS18_INS12_IdddEEdS13_EES1E_EEES6_SA_TnNSt9enable_ifIXaasr3std10is_base_ofINS5_10DirectBaseET4_EE5valuegtsrT5_10block_sizeLi0EEmE4typeELm256EEEvT1_T0_T2_T3_
; %bb.0:
	s_load_dwordx4 s[0:3], s[4:5], 0x10
	s_load_dwordx2 s[8:9], s[4:5], 0x20
	s_load_dwordx8 s[52:59], s[4:5], 0x30
	s_load_dwordx8 s[44:51], s[4:5], 0x58
	;; [unrolled: 1-line block ×5, first 2 shown]
	s_mov_b32 s7, 0
	s_lshl_b64 s[10:11], s[6:7], 8
	v_or_b32_e32 v15, s10, v0
	v_mov_b32_e32 v16, s11
	s_waitcnt lgkmcnt(0)
	v_cmp_gt_i64_e32 vcc, s[2:3], v[15:16]
	v_mov_b32_e32 v14, s9
	v_mov_b32_e32 v11, s58
	;; [unrolled: 1-line block ×12, first 2 shown]
	s_and_saveexec_b64 s[10:11], vcc
	s_cbranch_execz .LBB3_2
; %bb.1:
	s_load_dwordx4 s[28:31], s[4:5], 0x0
	v_mov_b32_e32 v4, s1
	v_add_co_u32_e32 v3, vcc, s0, v15
	v_addc_co_u32_e32 v4, vcc, v16, v4, vcc
	v_lshlrev_b64 v[3:4], 3, v[3:4]
	s_waitcnt lgkmcnt(0)
	v_mov_b32_e32 v6, s29
	v_add_co_u32_e32 v5, vcc, s28, v3
	v_addc_co_u32_e32 v6, vcc, v6, v4, vcc
	v_mov_b32_e32 v7, s31
	v_add_co_u32_e32 v3, vcc, s30, v3
	v_addc_co_u32_e32 v4, vcc, v7, v4, vcc
	global_load_dwordx2 v[5:6], v[5:6], off
	v_mov_b32_e32 v7, s51
	global_load_dwordx2 v[3:4], v[3:4], off
	v_mov_b32_e32 v9, s50
	v_mov_b32_e32 v8, s27
	;; [unrolled: 1-line block ×7, first 2 shown]
	s_waitcnt vmcnt(1)
	v_add_f64 v[13:14], s[8:9], v[5:6]
	v_cmp_gt_f64_e32 vcc, s[50:51], v[5:6]
	v_cmp_lt_f64_e64 s[0:1], s[26:27], v[5:6]
	s_waitcnt vmcnt(0)
	v_cmp_gt_f64_e64 s[2:3], s[42:43], v[3:4]
	v_cmp_lt_f64_e64 s[8:9], s[18:19], v[3:4]
	v_add_f64 v[11:12], s[58:59], v[3:4]
	v_cndmask_b32_e32 v10, v7, v6, vcc
	v_cndmask_b32_e64 v6, v8, v6, s[0:1]
	v_cndmask_b32_e64 v8, v16, v4, s[2:3]
	;; [unrolled: 1-line block ×3, first 2 shown]
	v_cndmask_b32_e32 v9, v9, v5, vcc
	v_cndmask_b32_e64 v5, v15, v5, s[0:1]
	v_cndmask_b32_e64 v7, v17, v3, s[2:3]
	;; [unrolled: 1-line block ×3, first 2 shown]
.LBB3_2:
	s_or_b64 exec, exec, s[10:11]
	v_mbcnt_lo_u32_b32 v15, -1, 0
	v_mbcnt_hi_u32_b32 v22, -1, v15
	v_and_b32_e32 v15, 64, v22
	v_add_u32_e32 v21, 64, v15
	v_xor_b32_e32 v15, 1, v22
	v_cmp_lt_i32_e32 vcc, v15, v21
	v_cndmask_b32_e32 v15, v22, v15, vcc
	v_lshlrev_b32_e32 v18, 2, v15
	ds_bpermute_b32 v15, v18, v13
	ds_bpermute_b32 v16, v18, v14
	s_load_dwordx2 s[18:19], s[4:5], 0x108
	s_load_dwordx4 s[28:31], s[4:5], 0xf8
	s_add_u32 s8, s4, 0x110
	s_addc_u32 s9, s5, 0
	s_waitcnt lgkmcnt(0)
	v_add_f64 v[13:14], v[13:14], v[15:16]
	v_xor_b32_e32 v15, 2, v22
	v_cmp_lt_i32_e32 vcc, v15, v21
	v_cndmask_b32_e32 v15, v22, v15, vcc
	v_lshlrev_b32_e32 v17, 2, v15
	ds_bpermute_b32 v15, v17, v13
	ds_bpermute_b32 v16, v17, v14
	s_waitcnt lgkmcnt(0)
	v_add_f64 v[13:14], v[13:14], v[15:16]
	v_xor_b32_e32 v15, 4, v22
	v_cmp_lt_i32_e32 vcc, v15, v21
	v_cndmask_b32_e32 v15, v22, v15, vcc
	v_lshlrev_b32_e32 v16, 2, v15
	v_xor_b32_e32 v15, 8, v22
	v_cmp_lt_i32_e32 vcc, v15, v21
	v_cndmask_b32_e32 v15, v22, v15, vcc
	ds_bpermute_b32 v19, v16, v13
	ds_bpermute_b32 v20, v16, v14
	v_lshlrev_b32_e32 v15, 2, v15
	s_waitcnt lgkmcnt(0)
	v_add_f64 v[13:14], v[13:14], v[19:20]
	ds_bpermute_b32 v19, v15, v13
	ds_bpermute_b32 v20, v15, v14
	s_waitcnt lgkmcnt(0)
	v_add_f64 v[13:14], v[13:14], v[19:20]
	v_xor_b32_e32 v19, 16, v22
	v_cmp_lt_i32_e32 vcc, v19, v21
	v_cndmask_b32_e32 v19, v22, v19, vcc
	v_lshlrev_b32_e32 v20, 2, v19
	v_xor_b32_e32 v19, 32, v22
	v_cmp_lt_i32_e32 vcc, v19, v21
	v_cndmask_b32_e32 v19, v22, v19, vcc
	ds_bpermute_b32 v23, v20, v13
	ds_bpermute_b32 v24, v20, v14
	v_lshlrev_b32_e32 v21, 2, v19
	v_and_b32_e32 v19, 63, v0
	v_cmp_eq_u32_e64 s[2:3], 0, v19
	s_waitcnt lgkmcnt(0)
	v_add_f64 v[13:14], v[13:14], v[23:24]
	ds_bpermute_b32 v23, v21, v13
	ds_bpermute_b32 v24, v21, v14
	s_waitcnt lgkmcnt(0)
	v_add_f64 v[13:14], v[13:14], v[23:24]
	s_and_saveexec_b64 s[0:1], s[2:3]
; %bb.3:
	v_lshrrev_b32_e32 v23, 3, v0
	ds_write_b64 v23, v[13:14] offset:256
; %bb.4:
	s_or_b64 exec, exec, s[0:1]
	s_load_dword s33, s[4:5], 0x110
	v_cmp_gt_u32_e64 s[4:5], 64, v0
	s_waitcnt lgkmcnt(0)
	s_barrier
	s_and_saveexec_b64 s[0:1], s[4:5]
	s_cbranch_execz .LBB3_8
; %bb.5:
	v_mov_b32_e32 v13, 0
	v_mov_b32_e32 v14, 0
	v_cmp_gt_u32_e32 vcc, 4, v19
	s_and_saveexec_b64 s[10:11], vcc
; %bb.6:
	v_lshlrev_b32_e32 v13, 3, v19
	ds_read_b64 v[13:14], v13 offset:256
; %bb.7:
	s_or_b64 exec, exec, s[10:11]
	s_waitcnt lgkmcnt(0)
	ds_bpermute_b32 v23, v18, v13
	ds_bpermute_b32 v24, v18, v14
	s_waitcnt lgkmcnt(0)
	v_add_f64 v[13:14], v[13:14], v[23:24]
	ds_bpermute_b32 v23, v17, v13
	ds_bpermute_b32 v24, v17, v14
	s_waitcnt lgkmcnt(0)
	v_add_f64 v[13:14], v[13:14], v[23:24]
	ds_bpermute_b32 v23, v16, v13
	ds_bpermute_b32 v24, v16, v14
	s_waitcnt lgkmcnt(0)
	v_add_f64 v[13:14], v[13:14], v[23:24]
	ds_bpermute_b32 v23, v15, v13
	ds_bpermute_b32 v24, v15, v14
	s_waitcnt lgkmcnt(0)
	v_add_f64 v[13:14], v[13:14], v[23:24]
.LBB3_8:
	s_or_b64 exec, exec, s[0:1]
	v_mov_b32_e32 v23, 0
	v_cmp_eq_u32_e64 s[0:1], 0, v0
	v_mov_b32_e32 v24, 0
	s_barrier
	s_and_saveexec_b64 s[10:11], s[0:1]
	s_cbranch_execz .LBB3_10
; %bb.9:
	s_ashr_i32 s7, s6, 31
	s_add_i32 s34, s33, -1
	s_lshl_b64 s[26:27], s[6:7], 3
	s_add_u32 s26, s54, s26
	v_mov_b32_e32 v24, 0
	s_addc_u32 s27, s55, s27
	global_store_dwordx2 v24, v[13:14], s[26:27]
	v_mov_b32_e32 v13, s34
	s_waitcnt vmcnt(0)
	buffer_wbinvl1_vol
	global_atomic_inc v13, v24, v13, s[56:57] glc
	s_waitcnt vmcnt(0)
	v_cmp_eq_u32_e32 vcc, s34, v13
	v_cndmask_b32_e64 v24, 0, 1, vcc
.LBB3_10:
	s_or_b64 exec, exec, s[10:11]
	global_load_dword v13, v23, s[8:9] offset:14
	s_waitcnt vmcnt(0)
	v_readfirstlane_b32 s7, v13
	s_lshr_b32 s10, s7, 16
	s_and_b32 s26, s7, 0xffff
	s_cmp_lt_u32 s6, s33
	s_cselect_b32 s7, 12, 18
	s_add_u32 s8, s8, s7
	s_addc_u32 s9, s9, 0
	global_load_ushort v23, v23, s[8:9]
	v_or_b32_dpp v13, v24, v24 row_shl:1 row_mask:0xf bank_mask:0xf bound_ctrl:1
	v_mad_u32_u24 v24, v2, s26, v1
	s_waitcnt vmcnt(0)
	v_readfirstlane_b32 s9, v23
	v_or_b32_dpp v13, v13, v13 row_shl:2 row_mask:0xf bank_mask:0xf bound_ctrl:1
	s_mul_i32 s9, s26, s9
	s_bfe_i32 s9, s9, 0x180000
	v_or_b32_dpp v13, v13, v13 row_shl:4 row_mask:0xf bank_mask:0xf bound_ctrl:1
	s_mul_i32 s9, s9, s10
	s_add_i32 s9, s9, 63
	v_or_b32_dpp v13, v13, v13 row_shl:8 row_mask:0xf bank_mask:0xf bound_ctrl:1
	s_bitcmp1_b32 exec_hi, 0
	s_nop 0
	v_mov_b32_dpp v14, v13 wave_shl:1 row_mask:0xf bank_mask:0xf bound_ctrl:1
	s_nop 1
	v_or_b32_dpp v13, v14, v13 row_mirror row_mask:0xf bank_mask:0xf bound_ctrl:1
	v_readlane_b32 s7, v13, 32
	v_readlane_b32 s8, v13, 0
	s_cselect_b32 s7, s7, 0
	s_andn2_b32 s9, s9, 63
	s_or_b32 s7, s7, s8
	s_cmp_lg_u32 s9, 64
	s_cselect_b64 s[10:11], -1, 0
	s_cmp_eq_u32 s9, 64
	v_mov_b32_e32 v13, s7
	s_cbranch_scc1 .LBB3_17
; %bb.11:
	v_mad_u64_u32 v[1:2], s[8:9], v24, v23, v[0:1]
	v_lshrrev_b32_e32 v2, 6, v1
	v_or_b32_e32 v2, v2, v22
	v_cmp_eq_u32_e32 vcc, 0, v2
	s_and_saveexec_b64 s[8:9], vcc
; %bb.12:
	v_mov_b32_e32 v2, 0
	v_mov_b32_e32 v13, s7
	ds_write_b32 v2, v13
; %bb.13:
	s_or_b64 exec, exec, s[8:9]
	v_cmp_eq_u32_e32 vcc, 0, v22
	v_cmp_lt_u32_e64 s[8:9], 63, v1
	s_and_b64 s[26:27], vcc, s[8:9]
	s_waitcnt lgkmcnt(0)
	s_barrier
	s_and_saveexec_b64 s[8:9], s[26:27]
	s_cbranch_execz .LBB3_16
; %bb.14:
	v_mbcnt_lo_u32_b32 v1, exec_lo, 0
	v_mbcnt_hi_u32_b32 v1, exec_hi, v1
	v_cmp_eq_u32_e32 vcc, 0, v1
	s_and_b64 exec, exec, vcc
; %bb.15:
	v_mov_b32_e32 v1, 0
	v_mov_b32_e32 v2, s7
	ds_or_b32 v1, v2
.LBB3_16:
	s_or_b64 exec, exec, s[8:9]
	v_mov_b32_e32 v1, 0
	s_waitcnt lgkmcnt(0)
	s_barrier
	ds_read_b32 v13, v1
	s_waitcnt lgkmcnt(0)
	s_barrier
.LBB3_17:
	v_cmp_eq_u32_e32 vcc, 0, v13
	v_cmp_gt_i32_e64 s[8:9], s33, v0
	s_cbranch_vccnz .LBB3_31
; %bb.18:
	v_mov_b32_e32 v1, 0
	v_mov_b32_e32 v2, 0
	buffer_wbinvl1_vol
	s_and_saveexec_b64 s[26:27], s[8:9]
	s_cbranch_execz .LBB3_22
; %bb.19:
	v_lshlrev_b32_e32 v1, 3, v0
	v_mov_b32_e32 v2, s55
	v_add_co_u32_e32 v13, vcc, s54, v1
	v_addc_co_u32_e32 v14, vcc, 0, v2, vcc
	v_mov_b32_e32 v1, 0
	v_mov_b32_e32 v2, 0
	s_mov_b64 s[34:35], 0
	v_mov_b32_e32 v25, v0
.LBB3_20:                               ; =>This Inner Loop Header: Depth=1
	global_load_dwordx2 v[26:27], v[13:14], off
	v_add_u32_e32 v25, 0x100, v25
	v_add_co_u32_e32 v13, vcc, 0x800, v13
	v_cmp_le_i32_e64 s[8:9], s33, v25
	s_or_b64 s[34:35], s[8:9], s[34:35]
	v_addc_co_u32_e32 v14, vcc, 0, v14, vcc
	s_waitcnt vmcnt(0)
	v_add_f64 v[1:2], v[1:2], v[26:27]
	s_andn2_b64 exec, exec, s[34:35]
	s_cbranch_execnz .LBB3_20
; %bb.21:
	s_or_b64 exec, exec, s[34:35]
.LBB3_22:
	s_or_b64 exec, exec, s[26:27]
	ds_bpermute_b32 v13, v18, v1
	ds_bpermute_b32 v14, v18, v2
	s_waitcnt lgkmcnt(0)
	v_add_f64 v[1:2], v[1:2], v[13:14]
	ds_bpermute_b32 v13, v17, v1
	ds_bpermute_b32 v14, v17, v2
	s_waitcnt lgkmcnt(0)
	v_add_f64 v[1:2], v[1:2], v[13:14]
	;; [unrolled: 4-line block ×6, first 2 shown]
	s_and_saveexec_b64 s[8:9], s[2:3]
; %bb.23:
	v_lshrrev_b32_e32 v13, 3, v0
	ds_write_b64 v13, v[1:2] offset:256
; %bb.24:
	s_or_b64 exec, exec, s[8:9]
	s_waitcnt lgkmcnt(0)
	s_barrier
	s_and_saveexec_b64 s[8:9], s[4:5]
	s_cbranch_execz .LBB3_28
; %bb.25:
	v_mov_b32_e32 v1, 0
	v_mov_b32_e32 v2, 0
	v_cmp_gt_u32_e32 vcc, 4, v19
	s_and_saveexec_b64 s[26:27], vcc
; %bb.26:
	v_lshlrev_b32_e32 v1, 3, v19
	ds_read_b64 v[1:2], v1 offset:256
; %bb.27:
	s_or_b64 exec, exec, s[26:27]
	s_waitcnt lgkmcnt(0)
	ds_bpermute_b32 v13, v18, v1
	ds_bpermute_b32 v14, v18, v2
	s_waitcnt lgkmcnt(0)
	v_add_f64 v[1:2], v[1:2], v[13:14]
	ds_bpermute_b32 v13, v17, v1
	ds_bpermute_b32 v14, v17, v2
	s_waitcnt lgkmcnt(0)
	v_add_f64 v[1:2], v[1:2], v[13:14]
	;; [unrolled: 4-line block ×4, first 2 shown]
.LBB3_28:
	s_or_b64 exec, exec, s[8:9]
	s_barrier
	s_and_saveexec_b64 s[8:9], s[0:1]
	s_cbranch_execz .LBB3_30
; %bb.29:
	v_mov_b32_e32 v13, 0
	global_store_dwordx2 v13, v[1:2], s[52:53]
.LBB3_30:
	s_or_b64 exec, exec, s[8:9]
.LBB3_31:
	ds_bpermute_b32 v1, v18, v11
	ds_bpermute_b32 v2, v18, v12
	s_waitcnt lgkmcnt(0)
	v_add_f64 v[1:2], v[11:12], v[1:2]
	ds_bpermute_b32 v11, v17, v1
	ds_bpermute_b32 v12, v17, v2
	s_waitcnt lgkmcnt(0)
	v_add_f64 v[1:2], v[1:2], v[11:12]
	;; [unrolled: 4-line block ×6, first 2 shown]
	s_and_saveexec_b64 s[8:9], s[2:3]
; %bb.32:
	v_lshrrev_b32_e32 v11, 3, v0
	ds_write_b64 v11, v[1:2] offset:256
; %bb.33:
	s_or_b64 exec, exec, s[8:9]
	s_waitcnt vmcnt(0) lgkmcnt(0)
	s_barrier
	s_and_saveexec_b64 s[8:9], s[4:5]
	s_cbranch_execz .LBB3_37
; %bb.34:
	v_mov_b32_e32 v1, 0
	v_mov_b32_e32 v2, 0
	v_cmp_gt_u32_e32 vcc, 4, v19
	s_and_saveexec_b64 s[26:27], vcc
; %bb.35:
	v_lshlrev_b32_e32 v1, 3, v19
	ds_read_b64 v[1:2], v1 offset:256
; %bb.36:
	s_or_b64 exec, exec, s[26:27]
	s_waitcnt lgkmcnt(0)
	ds_bpermute_b32 v11, v18, v1
	ds_bpermute_b32 v12, v18, v2
	s_waitcnt lgkmcnt(0)
	v_add_f64 v[1:2], v[1:2], v[11:12]
	ds_bpermute_b32 v11, v17, v1
	ds_bpermute_b32 v12, v17, v2
	s_waitcnt lgkmcnt(0)
	v_add_f64 v[1:2], v[1:2], v[11:12]
	;; [unrolled: 4-line block ×4, first 2 shown]
.LBB3_37:
	s_or_b64 exec, exec, s[8:9]
	v_mov_b32_e32 v11, 0
	s_barrier
	s_and_saveexec_b64 s[8:9], s[0:1]
	s_cbranch_execz .LBB3_39
; %bb.38:
	s_ashr_i32 s7, s6, 31
	s_add_i32 s34, s33, -1
	s_lshl_b64 s[26:27], s[6:7], 3
	s_add_u32 s26, s46, s26
	v_mov_b32_e32 v11, 0
	s_addc_u32 s27, s47, s27
	global_store_dwordx2 v11, v[1:2], s[26:27]
	v_mov_b32_e32 v1, s34
	s_waitcnt vmcnt(0)
	buffer_wbinvl1_vol
	global_atomic_inc v1, v11, v1, s[48:49] glc
	s_waitcnt vmcnt(0)
	v_cmp_eq_u32_e32 vcc, s34, v1
	v_cndmask_b32_e64 v11, 0, 1, vcc
.LBB3_39:
	s_or_b64 exec, exec, s[8:9]
	s_nop 0
	v_or_b32_dpp v1, v11, v11 row_shl:1 row_mask:0xf bank_mask:0xf bound_ctrl:1
	s_bitcmp1_b32 exec_hi, 0
	s_nop 0
	v_or_b32_dpp v1, v1, v1 row_shl:2 row_mask:0xf bank_mask:0xf bound_ctrl:1
	s_nop 1
	v_or_b32_dpp v1, v1, v1 row_shl:4 row_mask:0xf bank_mask:0xf bound_ctrl:1
	;; [unrolled: 2-line block ×3, first 2 shown]
	s_nop 1
	v_mov_b32_dpp v2, v1 wave_shl:1 row_mask:0xf bank_mask:0xf bound_ctrl:1
	s_nop 1
	v_or_b32_dpp v1, v2, v1 row_mirror row_mask:0xf bank_mask:0xf bound_ctrl:1
	v_readlane_b32 s7, v1, 32
	s_cselect_b32 s7, s7, 0
	v_readlane_b32 s8, v1, 0
	s_or_b32 s7, s7, s8
	v_cndmask_b32_e64 v1, 0, 1, s[10:11]
	v_cmp_ne_u32_e64 s[8:9], 1, v1
	s_andn2_b64 vcc, exec, s[10:11]
	v_mov_b32_e32 v1, s7
	s_cbranch_vccnz .LBB3_46
; %bb.40:
	v_mad_u64_u32 v[1:2], s[10:11], v24, v23, v[0:1]
	v_lshrrev_b32_e32 v2, 6, v1
	v_or_b32_e32 v2, v2, v22
	v_cmp_eq_u32_e32 vcc, 0, v2
	s_and_saveexec_b64 s[10:11], vcc
; %bb.41:
	v_mov_b32_e32 v2, 0
	v_mov_b32_e32 v11, s7
	ds_write_b32 v2, v11
; %bb.42:
	s_or_b64 exec, exec, s[10:11]
	v_cmp_eq_u32_e32 vcc, 0, v22
	v_cmp_lt_u32_e64 s[10:11], 63, v1
	s_and_b64 s[26:27], vcc, s[10:11]
	s_waitcnt lgkmcnt(0)
	s_barrier
	s_and_saveexec_b64 s[10:11], s[26:27]
	s_cbranch_execz .LBB3_45
; %bb.43:
	v_mbcnt_lo_u32_b32 v1, exec_lo, 0
	v_mbcnt_hi_u32_b32 v1, exec_hi, v1
	v_cmp_eq_u32_e32 vcc, 0, v1
	s_and_b64 exec, exec, vcc
; %bb.44:
	v_mov_b32_e32 v1, 0
	v_mov_b32_e32 v2, s7
	ds_or_b32 v1, v2
.LBB3_45:
	s_or_b64 exec, exec, s[10:11]
	v_mov_b32_e32 v1, 0
	s_waitcnt lgkmcnt(0)
	s_barrier
	ds_read_b32 v1, v1
	s_waitcnt lgkmcnt(0)
	s_barrier
.LBB3_46:
	v_cmp_eq_u32_e32 vcc, 0, v1
	s_cbranch_vccnz .LBB3_60
; %bb.47:
	v_mov_b32_e32 v1, 0
	v_mov_b32_e32 v2, 0
	v_cmp_gt_i32_e32 vcc, s33, v0
	buffer_wbinvl1_vol
	s_and_saveexec_b64 s[26:27], vcc
	s_cbranch_execz .LBB3_51
; %bb.48:
	v_lshlrev_b32_e32 v1, 3, v0
	v_mov_b32_e32 v2, s47
	v_add_co_u32_e32 v11, vcc, s46, v1
	v_addc_co_u32_e32 v12, vcc, 0, v2, vcc
	v_mov_b32_e32 v1, 0
	v_mov_b32_e32 v2, 0
	s_mov_b64 s[34:35], 0
	v_mov_b32_e32 v13, v0
.LBB3_49:                               ; =>This Inner Loop Header: Depth=1
	global_load_dwordx2 v[25:26], v[11:12], off
	v_add_u32_e32 v13, 0x100, v13
	v_add_co_u32_e32 v11, vcc, 0x800, v11
	v_cmp_le_i32_e64 s[10:11], s33, v13
	s_or_b64 s[34:35], s[10:11], s[34:35]
	v_addc_co_u32_e32 v12, vcc, 0, v12, vcc
	s_waitcnt vmcnt(0)
	v_add_f64 v[1:2], v[1:2], v[25:26]
	s_andn2_b64 exec, exec, s[34:35]
	s_cbranch_execnz .LBB3_49
; %bb.50:
	s_or_b64 exec, exec, s[34:35]
.LBB3_51:
	s_or_b64 exec, exec, s[26:27]
	ds_bpermute_b32 v11, v18, v1
	ds_bpermute_b32 v12, v18, v2
	s_waitcnt lgkmcnt(0)
	v_add_f64 v[1:2], v[1:2], v[11:12]
	ds_bpermute_b32 v11, v17, v1
	ds_bpermute_b32 v12, v17, v2
	s_waitcnt lgkmcnt(0)
	v_add_f64 v[1:2], v[1:2], v[11:12]
	;; [unrolled: 4-line block ×6, first 2 shown]
	s_and_saveexec_b64 s[10:11], s[2:3]
; %bb.52:
	v_lshrrev_b32_e32 v11, 3, v0
	ds_write_b64 v11, v[1:2] offset:256
; %bb.53:
	s_or_b64 exec, exec, s[10:11]
	s_waitcnt lgkmcnt(0)
	s_barrier
	s_and_saveexec_b64 s[10:11], s[4:5]
	s_cbranch_execz .LBB3_57
; %bb.54:
	v_mov_b32_e32 v1, 0
	v_mov_b32_e32 v2, 0
	v_cmp_gt_u32_e32 vcc, 4, v19
	s_and_saveexec_b64 s[26:27], vcc
; %bb.55:
	v_lshlrev_b32_e32 v1, 3, v19
	ds_read_b64 v[1:2], v1 offset:256
; %bb.56:
	s_or_b64 exec, exec, s[26:27]
	s_waitcnt lgkmcnt(0)
	ds_bpermute_b32 v11, v18, v1
	ds_bpermute_b32 v12, v18, v2
	s_waitcnt lgkmcnt(0)
	v_add_f64 v[1:2], v[1:2], v[11:12]
	ds_bpermute_b32 v11, v17, v1
	ds_bpermute_b32 v12, v17, v2
	s_waitcnt lgkmcnt(0)
	v_add_f64 v[1:2], v[1:2], v[11:12]
	;; [unrolled: 4-line block ×4, first 2 shown]
.LBB3_57:
	s_or_b64 exec, exec, s[10:11]
	s_barrier
	s_and_saveexec_b64 s[10:11], s[0:1]
	s_cbranch_execz .LBB3_59
; %bb.58:
	v_mov_b32_e32 v11, 0
	global_store_dwordx2 v11, v[1:2], s[44:45]
.LBB3_59:
	s_or_b64 exec, exec, s[10:11]
.LBB3_60:
	ds_bpermute_b32 v1, v18, v9
	ds_bpermute_b32 v2, v18, v10
	s_waitcnt lgkmcnt(0)
	v_cmp_gt_f64_e32 vcc, v[9:10], v[1:2]
	v_cndmask_b32_e32 v2, v10, v2, vcc
	v_cndmask_b32_e32 v1, v9, v1, vcc
	ds_bpermute_b32 v10, v17, v2
	ds_bpermute_b32 v9, v17, v1
	s_waitcnt lgkmcnt(0)
	v_cmp_gt_f64_e32 vcc, v[1:2], v[9:10]
	v_cndmask_b32_e32 v2, v2, v10, vcc
	v_cndmask_b32_e32 v1, v1, v9, vcc
	;; [unrolled: 6-line block ×6, first 2 shown]
	s_and_saveexec_b64 s[10:11], s[2:3]
; %bb.61:
	v_lshrrev_b32_e32 v9, 3, v0
	ds_write_b64 v9, v[1:2] offset:512
; %bb.62:
	s_or_b64 exec, exec, s[10:11]
	s_waitcnt vmcnt(0) lgkmcnt(0)
	s_barrier
	s_and_saveexec_b64 s[10:11], s[4:5]
	s_cbranch_execz .LBB3_66
; %bb.63:
	v_cmp_gt_u32_e32 vcc, 4, v19
	v_mov_b32_e32 v1, -1
	v_mov_b32_e32 v2, 0x7fefffff
	s_and_saveexec_b64 s[26:27], vcc
; %bb.64:
	v_lshlrev_b32_e32 v1, 3, v19
	ds_read_b64 v[1:2], v1 offset:512
; %bb.65:
	s_or_b64 exec, exec, s[26:27]
	s_waitcnt lgkmcnt(0)
	ds_bpermute_b32 v11, v18, v2
	ds_bpermute_b32 v9, v18, v1
	s_waitcnt lgkmcnt(1)
	v_mov_b32_e32 v10, v11
	s_waitcnt lgkmcnt(0)
	v_cmp_gt_f64_e32 vcc, v[1:2], v[9:10]
	v_cndmask_b32_e32 v2, v2, v11, vcc
	ds_bpermute_b32 v11, v17, v2
	v_cndmask_b32_e32 v1, v1, v9, vcc
	ds_bpermute_b32 v9, v17, v1
	s_waitcnt lgkmcnt(1)
	v_mov_b32_e32 v10, v11
	s_waitcnt lgkmcnt(0)
	v_cmp_gt_f64_e32 vcc, v[1:2], v[9:10]
	v_cndmask_b32_e32 v2, v2, v11, vcc
	ds_bpermute_b32 v11, v16, v2
	v_cndmask_b32_e32 v1, v1, v9, vcc
	ds_bpermute_b32 v9, v16, v1
	s_waitcnt lgkmcnt(1)
	v_mov_b32_e32 v10, v11
	s_waitcnt lgkmcnt(0)
	v_cmp_gt_f64_e32 vcc, v[1:2], v[9:10]
	v_cndmask_b32_e32 v2, v2, v11, vcc
	v_cndmask_b32_e32 v1, v1, v9, vcc
	ds_bpermute_b32 v11, v15, v2
	ds_bpermute_b32 v9, v15, v1
	s_waitcnt lgkmcnt(1)
	v_mov_b32_e32 v10, v11
	s_waitcnt lgkmcnt(0)
	v_cmp_gt_f64_e32 vcc, v[1:2], v[9:10]
	v_cndmask_b32_e32 v2, v2, v11, vcc
	v_cndmask_b32_e32 v1, v1, v9, vcc
.LBB3_66:
	s_or_b64 exec, exec, s[10:11]
	v_mov_b32_e32 v9, 0
	s_barrier
	s_and_saveexec_b64 s[10:11], s[0:1]
	s_cbranch_execz .LBB3_68
; %bb.67:
	s_ashr_i32 s7, s6, 31
	s_add_i32 s34, s33, -1
	s_lshl_b64 s[26:27], s[6:7], 3
	s_add_u32 s26, s38, s26
	v_mov_b32_e32 v9, 0
	s_addc_u32 s27, s39, s27
	global_store_dwordx2 v9, v[1:2], s[26:27]
	v_mov_b32_e32 v1, s34
	s_waitcnt vmcnt(0)
	buffer_wbinvl1_vol
	global_atomic_inc v1, v9, v1, s[40:41] glc
	s_waitcnt vmcnt(0)
	v_cmp_eq_u32_e32 vcc, s34, v1
	v_cndmask_b32_e64 v9, 0, 1, vcc
.LBB3_68:
	s_or_b64 exec, exec, s[10:11]
	s_nop 0
	v_or_b32_dpp v1, v9, v9 row_shl:1 row_mask:0xf bank_mask:0xf bound_ctrl:1
	s_bitcmp1_b32 exec_hi, 0
	s_nop 0
	v_or_b32_dpp v1, v1, v1 row_shl:2 row_mask:0xf bank_mask:0xf bound_ctrl:1
	s_nop 1
	v_or_b32_dpp v1, v1, v1 row_shl:4 row_mask:0xf bank_mask:0xf bound_ctrl:1
	;; [unrolled: 2-line block ×3, first 2 shown]
	s_nop 1
	v_mov_b32_dpp v2, v1 wave_shl:1 row_mask:0xf bank_mask:0xf bound_ctrl:1
	s_nop 1
	v_or_b32_dpp v1, v2, v1 row_mirror row_mask:0xf bank_mask:0xf bound_ctrl:1
	v_readlane_b32 s7, v1, 32
	s_cselect_b32 s7, s7, 0
	v_readlane_b32 s10, v1, 0
	s_or_b32 s7, s7, s10
	s_and_b64 vcc, exec, s[8:9]
	v_mov_b32_e32 v1, s7
	s_cbranch_vccnz .LBB3_75
; %bb.69:
	v_mad_u64_u32 v[1:2], s[10:11], v24, v23, v[0:1]
	v_lshrrev_b32_e32 v2, 6, v1
	v_or_b32_e32 v2, v2, v22
	v_cmp_eq_u32_e32 vcc, 0, v2
	s_and_saveexec_b64 s[10:11], vcc
; %bb.70:
	v_mov_b32_e32 v2, 0
	v_mov_b32_e32 v9, s7
	ds_write_b32 v2, v9
; %bb.71:
	s_or_b64 exec, exec, s[10:11]
	v_cmp_eq_u32_e32 vcc, 0, v22
	v_cmp_lt_u32_e64 s[10:11], 63, v1
	s_and_b64 s[26:27], vcc, s[10:11]
	s_waitcnt lgkmcnt(0)
	s_barrier
	s_and_saveexec_b64 s[10:11], s[26:27]
	s_cbranch_execz .LBB3_74
; %bb.72:
	v_mbcnt_lo_u32_b32 v1, exec_lo, 0
	v_mbcnt_hi_u32_b32 v1, exec_hi, v1
	v_cmp_eq_u32_e32 vcc, 0, v1
	s_and_b64 exec, exec, vcc
; %bb.73:
	v_mov_b32_e32 v1, 0
	v_mov_b32_e32 v2, s7
	ds_or_b32 v1, v2
.LBB3_74:
	s_or_b64 exec, exec, s[10:11]
	v_mov_b32_e32 v1, 0
	s_waitcnt lgkmcnt(0)
	s_barrier
	ds_read_b32 v1, v1
	s_waitcnt lgkmcnt(0)
	s_barrier
.LBB3_75:
	v_cmp_eq_u32_e32 vcc, 0, v1
	s_cbranch_vccnz .LBB3_89
; %bb.76:
	v_cmp_gt_i32_e32 vcc, s33, v0
	v_mov_b32_e32 v1, -1
	v_mov_b32_e32 v2, 0x7fefffff
	buffer_wbinvl1_vol
	s_and_saveexec_b64 s[26:27], vcc
	s_cbranch_execz .LBB3_80
; %bb.77:
	v_lshlrev_b32_e32 v9, 3, v0
	v_mov_b32_e32 v10, s39
	v_add_co_u32_e32 v9, vcc, s38, v9
	v_addc_co_u32_e32 v10, vcc, 0, v10, vcc
	s_mov_b64 s[34:35], 0
	v_mov_b32_e32 v11, v0
.LBB3_78:                               ; =>This Inner Loop Header: Depth=1
	global_load_dwordx2 v[12:13], v[9:10], off
	v_add_co_u32_e32 v9, vcc, 0x800, v9
	v_add_u32_e32 v11, 0x100, v11
	v_addc_co_u32_e32 v10, vcc, 0, v10, vcc
	v_cmp_le_i32_e32 vcc, s33, v11
	s_or_b64 s[34:35], vcc, s[34:35]
	s_waitcnt vmcnt(0)
	v_cmp_lt_f64_e64 s[10:11], v[12:13], v[1:2]
	v_cndmask_b32_e64 v2, v2, v13, s[10:11]
	v_cndmask_b32_e64 v1, v1, v12, s[10:11]
	s_andn2_b64 exec, exec, s[34:35]
	s_cbranch_execnz .LBB3_78
; %bb.79:
	s_or_b64 exec, exec, s[34:35]
.LBB3_80:
	s_or_b64 exec, exec, s[26:27]
	ds_bpermute_b32 v9, v18, v1
	ds_bpermute_b32 v10, v18, v2
	s_waitcnt lgkmcnt(0)
	v_cmp_gt_f64_e32 vcc, v[1:2], v[9:10]
	v_cndmask_b32_e32 v2, v2, v10, vcc
	v_cndmask_b32_e32 v1, v1, v9, vcc
	ds_bpermute_b32 v10, v17, v2
	ds_bpermute_b32 v9, v17, v1
	s_waitcnt lgkmcnt(0)
	v_cmp_gt_f64_e32 vcc, v[1:2], v[9:10]
	v_cndmask_b32_e32 v2, v2, v10, vcc
	v_cndmask_b32_e32 v1, v1, v9, vcc
	;; [unrolled: 6-line block ×6, first 2 shown]
	s_and_saveexec_b64 s[10:11], s[2:3]
; %bb.81:
	v_lshrrev_b32_e32 v9, 3, v0
	ds_write_b64 v9, v[1:2] offset:512
; %bb.82:
	s_or_b64 exec, exec, s[10:11]
	s_waitcnt lgkmcnt(0)
	s_barrier
	s_and_saveexec_b64 s[10:11], s[4:5]
	s_cbranch_execz .LBB3_86
; %bb.83:
	v_cmp_gt_u32_e32 vcc, 4, v19
	v_mov_b32_e32 v1, -1
	v_mov_b32_e32 v2, 0x7fefffff
	s_and_saveexec_b64 s[26:27], vcc
; %bb.84:
	v_lshlrev_b32_e32 v1, 3, v19
	ds_read_b64 v[1:2], v1 offset:512
; %bb.85:
	s_or_b64 exec, exec, s[26:27]
	s_waitcnt lgkmcnt(0)
	ds_bpermute_b32 v11, v18, v2
	ds_bpermute_b32 v9, v18, v1
	s_waitcnt lgkmcnt(1)
	v_mov_b32_e32 v10, v11
	s_waitcnt lgkmcnt(0)
	v_cmp_gt_f64_e32 vcc, v[1:2], v[9:10]
	v_cndmask_b32_e32 v2, v2, v11, vcc
	ds_bpermute_b32 v11, v17, v2
	v_cndmask_b32_e32 v1, v1, v9, vcc
	ds_bpermute_b32 v9, v17, v1
	s_waitcnt lgkmcnt(1)
	v_mov_b32_e32 v10, v11
	s_waitcnt lgkmcnt(0)
	v_cmp_gt_f64_e32 vcc, v[1:2], v[9:10]
	v_cndmask_b32_e32 v2, v2, v11, vcc
	ds_bpermute_b32 v11, v16, v2
	v_cndmask_b32_e32 v1, v1, v9, vcc
	ds_bpermute_b32 v9, v16, v1
	s_waitcnt lgkmcnt(1)
	v_mov_b32_e32 v10, v11
	s_waitcnt lgkmcnt(0)
	v_cmp_gt_f64_e32 vcc, v[1:2], v[9:10]
	v_cndmask_b32_e32 v2, v2, v11, vcc
	v_cndmask_b32_e32 v1, v1, v9, vcc
	ds_bpermute_b32 v11, v15, v2
	ds_bpermute_b32 v9, v15, v1
	s_waitcnt lgkmcnt(1)
	v_mov_b32_e32 v10, v11
	s_waitcnt lgkmcnt(0)
	v_cmp_gt_f64_e32 vcc, v[1:2], v[9:10]
	v_cndmask_b32_e32 v2, v2, v11, vcc
	v_cndmask_b32_e32 v1, v1, v9, vcc
.LBB3_86:
	s_or_b64 exec, exec, s[10:11]
	s_barrier
	s_and_saveexec_b64 s[10:11], s[0:1]
	s_cbranch_execz .LBB3_88
; %bb.87:
	v_mov_b32_e32 v9, 0
	global_store_dwordx2 v9, v[1:2], s[36:37]
.LBB3_88:
	s_or_b64 exec, exec, s[10:11]
.LBB3_89:
	ds_bpermute_b32 v1, v18, v7
	ds_bpermute_b32 v2, v18, v8
	s_waitcnt lgkmcnt(0)
	v_cmp_gt_f64_e32 vcc, v[7:8], v[1:2]
	v_cndmask_b32_e32 v2, v8, v2, vcc
	v_cndmask_b32_e32 v1, v7, v1, vcc
	ds_bpermute_b32 v8, v17, v2
	ds_bpermute_b32 v7, v17, v1
	s_waitcnt lgkmcnt(0)
	v_cmp_gt_f64_e32 vcc, v[1:2], v[7:8]
	v_cndmask_b32_e32 v2, v2, v8, vcc
	v_cndmask_b32_e32 v1, v1, v7, vcc
	;; [unrolled: 6-line block ×6, first 2 shown]
	s_and_saveexec_b64 s[10:11], s[2:3]
; %bb.90:
	v_lshrrev_b32_e32 v7, 3, v0
	ds_write_b64 v7, v[1:2] offset:512
; %bb.91:
	s_or_b64 exec, exec, s[10:11]
	s_waitcnt vmcnt(0) lgkmcnt(0)
	s_barrier
	s_and_saveexec_b64 s[10:11], s[4:5]
	s_cbranch_execz .LBB3_95
; %bb.92:
	v_cmp_gt_u32_e32 vcc, 4, v19
	v_mov_b32_e32 v1, -1
	v_mov_b32_e32 v2, 0x7fefffff
	s_and_saveexec_b64 s[26:27], vcc
; %bb.93:
	v_lshlrev_b32_e32 v1, 3, v19
	ds_read_b64 v[1:2], v1 offset:512
; %bb.94:
	s_or_b64 exec, exec, s[26:27]
	s_waitcnt lgkmcnt(0)
	ds_bpermute_b32 v9, v18, v2
	ds_bpermute_b32 v7, v18, v1
	s_waitcnt lgkmcnt(1)
	v_mov_b32_e32 v8, v9
	s_waitcnt lgkmcnt(0)
	v_cmp_gt_f64_e32 vcc, v[1:2], v[7:8]
	v_cndmask_b32_e32 v2, v2, v9, vcc
	ds_bpermute_b32 v9, v17, v2
	v_cndmask_b32_e32 v1, v1, v7, vcc
	ds_bpermute_b32 v7, v17, v1
	s_waitcnt lgkmcnt(1)
	v_mov_b32_e32 v8, v9
	s_waitcnt lgkmcnt(0)
	v_cmp_gt_f64_e32 vcc, v[1:2], v[7:8]
	v_cndmask_b32_e32 v2, v2, v9, vcc
	ds_bpermute_b32 v9, v16, v2
	v_cndmask_b32_e32 v1, v1, v7, vcc
	ds_bpermute_b32 v7, v16, v1
	s_waitcnt lgkmcnt(1)
	v_mov_b32_e32 v8, v9
	s_waitcnt lgkmcnt(0)
	v_cmp_gt_f64_e32 vcc, v[1:2], v[7:8]
	v_cndmask_b32_e32 v2, v2, v9, vcc
	v_cndmask_b32_e32 v1, v1, v7, vcc
	ds_bpermute_b32 v9, v15, v2
	ds_bpermute_b32 v7, v15, v1
	s_waitcnt lgkmcnt(1)
	v_mov_b32_e32 v8, v9
	s_waitcnt lgkmcnt(0)
	v_cmp_gt_f64_e32 vcc, v[1:2], v[7:8]
	v_cndmask_b32_e32 v2, v2, v9, vcc
	v_cndmask_b32_e32 v1, v1, v7, vcc
.LBB3_95:
	s_or_b64 exec, exec, s[10:11]
	v_mov_b32_e32 v7, 0
	s_barrier
	s_and_saveexec_b64 s[10:11], s[0:1]
	s_cbranch_execz .LBB3_97
; %bb.96:
	s_ashr_i32 s7, s6, 31
	s_add_i32 s34, s33, -1
	s_lshl_b64 s[26:27], s[6:7], 3
	s_add_u32 s26, s22, s26
	v_mov_b32_e32 v7, 0
	s_addc_u32 s27, s23, s27
	global_store_dwordx2 v7, v[1:2], s[26:27]
	v_mov_b32_e32 v1, s34
	s_waitcnt vmcnt(0)
	buffer_wbinvl1_vol
	global_atomic_inc v1, v7, v1, s[24:25] glc
	s_waitcnt vmcnt(0)
	v_cmp_eq_u32_e32 vcc, s34, v1
	v_cndmask_b32_e64 v7, 0, 1, vcc
.LBB3_97:
	s_or_b64 exec, exec, s[10:11]
	s_nop 0
	v_or_b32_dpp v1, v7, v7 row_shl:1 row_mask:0xf bank_mask:0xf bound_ctrl:1
	s_bitcmp1_b32 exec_hi, 0
	s_nop 0
	v_or_b32_dpp v1, v1, v1 row_shl:2 row_mask:0xf bank_mask:0xf bound_ctrl:1
	s_nop 1
	v_or_b32_dpp v1, v1, v1 row_shl:4 row_mask:0xf bank_mask:0xf bound_ctrl:1
	;; [unrolled: 2-line block ×3, first 2 shown]
	s_nop 1
	v_mov_b32_dpp v2, v1 wave_shl:1 row_mask:0xf bank_mask:0xf bound_ctrl:1
	s_nop 1
	v_or_b32_dpp v1, v2, v1 row_mirror row_mask:0xf bank_mask:0xf bound_ctrl:1
	v_readlane_b32 s7, v1, 32
	s_cselect_b32 s7, s7, 0
	v_readlane_b32 s10, v1, 0
	s_or_b32 s7, s7, s10
	s_and_b64 vcc, exec, s[8:9]
	v_mov_b32_e32 v1, s7
	s_cbranch_vccnz .LBB3_104
; %bb.98:
	v_mad_u64_u32 v[1:2], s[10:11], v24, v23, v[0:1]
	v_lshrrev_b32_e32 v2, 6, v1
	v_or_b32_e32 v2, v2, v22
	v_cmp_eq_u32_e32 vcc, 0, v2
	s_and_saveexec_b64 s[10:11], vcc
; %bb.99:
	v_mov_b32_e32 v2, 0
	v_mov_b32_e32 v7, s7
	ds_write_b32 v2, v7
; %bb.100:
	s_or_b64 exec, exec, s[10:11]
	v_cmp_eq_u32_e32 vcc, 0, v22
	v_cmp_lt_u32_e64 s[10:11], 63, v1
	s_and_b64 s[24:25], vcc, s[10:11]
	s_waitcnt lgkmcnt(0)
	s_barrier
	s_and_saveexec_b64 s[10:11], s[24:25]
	s_cbranch_execz .LBB3_103
; %bb.101:
	v_mbcnt_lo_u32_b32 v1, exec_lo, 0
	v_mbcnt_hi_u32_b32 v1, exec_hi, v1
	v_cmp_eq_u32_e32 vcc, 0, v1
	s_and_b64 exec, exec, vcc
; %bb.102:
	v_mov_b32_e32 v1, 0
	v_mov_b32_e32 v2, s7
	ds_or_b32 v1, v2
.LBB3_103:
	s_or_b64 exec, exec, s[10:11]
	v_mov_b32_e32 v1, 0
	s_waitcnt lgkmcnt(0)
	s_barrier
	ds_read_b32 v1, v1
	s_waitcnt lgkmcnt(0)
	s_barrier
.LBB3_104:
	v_cmp_eq_u32_e32 vcc, 0, v1
	s_cbranch_vccnz .LBB3_118
; %bb.105:
	v_cmp_gt_i32_e32 vcc, s33, v0
	v_mov_b32_e32 v1, -1
	v_mov_b32_e32 v2, 0x7fefffff
	buffer_wbinvl1_vol
	s_and_saveexec_b64 s[24:25], vcc
	s_cbranch_execz .LBB3_109
; %bb.106:
	v_lshlrev_b32_e32 v7, 3, v0
	v_mov_b32_e32 v8, s23
	v_add_co_u32_e32 v7, vcc, s22, v7
	v_addc_co_u32_e32 v8, vcc, 0, v8, vcc
	s_mov_b64 s[22:23], 0
	v_mov_b32_e32 v9, v0
.LBB3_107:                              ; =>This Inner Loop Header: Depth=1
	global_load_dwordx2 v[10:11], v[7:8], off
	v_add_co_u32_e32 v7, vcc, 0x800, v7
	v_add_u32_e32 v9, 0x100, v9
	v_addc_co_u32_e32 v8, vcc, 0, v8, vcc
	v_cmp_le_i32_e32 vcc, s33, v9
	s_or_b64 s[22:23], vcc, s[22:23]
	s_waitcnt vmcnt(0)
	v_cmp_lt_f64_e64 s[10:11], v[10:11], v[1:2]
	v_cndmask_b32_e64 v2, v2, v11, s[10:11]
	v_cndmask_b32_e64 v1, v1, v10, s[10:11]
	s_andn2_b64 exec, exec, s[22:23]
	s_cbranch_execnz .LBB3_107
; %bb.108:
	s_or_b64 exec, exec, s[22:23]
.LBB3_109:
	s_or_b64 exec, exec, s[24:25]
	ds_bpermute_b32 v7, v18, v1
	ds_bpermute_b32 v8, v18, v2
	s_waitcnt lgkmcnt(0)
	v_cmp_gt_f64_e32 vcc, v[1:2], v[7:8]
	v_cndmask_b32_e32 v2, v2, v8, vcc
	v_cndmask_b32_e32 v1, v1, v7, vcc
	ds_bpermute_b32 v8, v17, v2
	ds_bpermute_b32 v7, v17, v1
	s_waitcnt lgkmcnt(0)
	v_cmp_gt_f64_e32 vcc, v[1:2], v[7:8]
	v_cndmask_b32_e32 v2, v2, v8, vcc
	v_cndmask_b32_e32 v1, v1, v7, vcc
	;; [unrolled: 6-line block ×6, first 2 shown]
	s_and_saveexec_b64 s[10:11], s[2:3]
; %bb.110:
	v_lshrrev_b32_e32 v7, 3, v0
	ds_write_b64 v7, v[1:2] offset:512
; %bb.111:
	s_or_b64 exec, exec, s[10:11]
	s_waitcnt lgkmcnt(0)
	s_barrier
	s_and_saveexec_b64 s[10:11], s[4:5]
	s_cbranch_execz .LBB3_115
; %bb.112:
	v_cmp_gt_u32_e32 vcc, 4, v19
	v_mov_b32_e32 v1, -1
	v_mov_b32_e32 v2, 0x7fefffff
	s_and_saveexec_b64 s[22:23], vcc
; %bb.113:
	v_lshlrev_b32_e32 v1, 3, v19
	ds_read_b64 v[1:2], v1 offset:512
; %bb.114:
	s_or_b64 exec, exec, s[22:23]
	s_waitcnt lgkmcnt(0)
	ds_bpermute_b32 v9, v18, v2
	ds_bpermute_b32 v7, v18, v1
	s_waitcnt lgkmcnt(1)
	v_mov_b32_e32 v8, v9
	s_waitcnt lgkmcnt(0)
	v_cmp_gt_f64_e32 vcc, v[1:2], v[7:8]
	v_cndmask_b32_e32 v2, v2, v9, vcc
	ds_bpermute_b32 v9, v17, v2
	v_cndmask_b32_e32 v1, v1, v7, vcc
	ds_bpermute_b32 v7, v17, v1
	s_waitcnt lgkmcnt(1)
	v_mov_b32_e32 v8, v9
	s_waitcnt lgkmcnt(0)
	v_cmp_gt_f64_e32 vcc, v[1:2], v[7:8]
	v_cndmask_b32_e32 v2, v2, v9, vcc
	ds_bpermute_b32 v9, v16, v2
	v_cndmask_b32_e32 v1, v1, v7, vcc
	ds_bpermute_b32 v7, v16, v1
	s_waitcnt lgkmcnt(1)
	v_mov_b32_e32 v8, v9
	s_waitcnt lgkmcnt(0)
	v_cmp_gt_f64_e32 vcc, v[1:2], v[7:8]
	v_cndmask_b32_e32 v2, v2, v9, vcc
	v_cndmask_b32_e32 v1, v1, v7, vcc
	ds_bpermute_b32 v9, v15, v2
	ds_bpermute_b32 v7, v15, v1
	s_waitcnt lgkmcnt(1)
	v_mov_b32_e32 v8, v9
	s_waitcnt lgkmcnt(0)
	v_cmp_gt_f64_e32 vcc, v[1:2], v[7:8]
	v_cndmask_b32_e32 v2, v2, v9, vcc
	v_cndmask_b32_e32 v1, v1, v7, vcc
.LBB3_115:
	s_or_b64 exec, exec, s[10:11]
	s_barrier
	s_and_saveexec_b64 s[10:11], s[0:1]
	s_cbranch_execz .LBB3_117
; %bb.116:
	v_mov_b32_e32 v7, 0
	global_store_dwordx2 v7, v[1:2], s[20:21]
.LBB3_117:
	s_or_b64 exec, exec, s[10:11]
.LBB3_118:
	ds_bpermute_b32 v1, v18, v5
	ds_bpermute_b32 v2, v18, v6
	s_waitcnt lgkmcnt(0)
	v_cmp_lt_f64_e32 vcc, v[5:6], v[1:2]
	v_cndmask_b32_e32 v2, v6, v2, vcc
	v_cndmask_b32_e32 v1, v5, v1, vcc
	ds_bpermute_b32 v6, v17, v2
	ds_bpermute_b32 v5, v17, v1
	s_waitcnt lgkmcnt(0)
	v_cmp_lt_f64_e32 vcc, v[1:2], v[5:6]
	v_cndmask_b32_e32 v2, v2, v6, vcc
	v_cndmask_b32_e32 v1, v1, v5, vcc
	;; [unrolled: 6-line block ×6, first 2 shown]
	s_and_saveexec_b64 s[10:11], s[2:3]
; %bb.119:
	v_lshrrev_b32_e32 v5, 3, v0
	ds_write_b64 v5, v[1:2] offset:384
; %bb.120:
	s_or_b64 exec, exec, s[10:11]
	s_waitcnt vmcnt(0) lgkmcnt(0)
	s_barrier
	s_and_saveexec_b64 s[10:11], s[4:5]
	s_cbranch_execz .LBB3_124
; %bb.121:
	v_cmp_gt_u32_e32 vcc, 4, v19
	v_mov_b32_e32 v1, -1
	v_mov_b32_e32 v2, 0xffefffff
	s_and_saveexec_b64 s[20:21], vcc
; %bb.122:
	v_lshlrev_b32_e32 v1, 3, v19
	ds_read_b64 v[1:2], v1 offset:384
; %bb.123:
	s_or_b64 exec, exec, s[20:21]
	s_waitcnt lgkmcnt(0)
	ds_bpermute_b32 v7, v18, v2
	ds_bpermute_b32 v5, v18, v1
	s_waitcnt lgkmcnt(1)
	v_mov_b32_e32 v6, v7
	s_waitcnt lgkmcnt(0)
	v_cmp_lt_f64_e32 vcc, v[1:2], v[5:6]
	v_cndmask_b32_e32 v2, v2, v7, vcc
	ds_bpermute_b32 v7, v17, v2
	v_cndmask_b32_e32 v1, v1, v5, vcc
	ds_bpermute_b32 v5, v17, v1
	s_waitcnt lgkmcnt(1)
	v_mov_b32_e32 v6, v7
	s_waitcnt lgkmcnt(0)
	v_cmp_lt_f64_e32 vcc, v[1:2], v[5:6]
	v_cndmask_b32_e32 v2, v2, v7, vcc
	ds_bpermute_b32 v7, v16, v2
	v_cndmask_b32_e32 v1, v1, v5, vcc
	ds_bpermute_b32 v5, v16, v1
	s_waitcnt lgkmcnt(1)
	v_mov_b32_e32 v6, v7
	s_waitcnt lgkmcnt(0)
	v_cmp_lt_f64_e32 vcc, v[1:2], v[5:6]
	v_cndmask_b32_e32 v2, v2, v7, vcc
	v_cndmask_b32_e32 v1, v1, v5, vcc
	ds_bpermute_b32 v7, v15, v2
	ds_bpermute_b32 v5, v15, v1
	s_waitcnt lgkmcnt(1)
	v_mov_b32_e32 v6, v7
	s_waitcnt lgkmcnt(0)
	v_cmp_lt_f64_e32 vcc, v[1:2], v[5:6]
	v_cndmask_b32_e32 v2, v2, v7, vcc
	v_cndmask_b32_e32 v1, v1, v5, vcc
.LBB3_124:
	s_or_b64 exec, exec, s[10:11]
	v_mov_b32_e32 v5, 0
	s_barrier
	s_and_saveexec_b64 s[10:11], s[0:1]
	s_cbranch_execz .LBB3_126
; %bb.125:
	s_ashr_i32 s7, s6, 31
	s_add_i32 s22, s33, -1
	s_lshl_b64 s[20:21], s[6:7], 3
	s_add_u32 s20, s14, s20
	v_mov_b32_e32 v5, 0
	s_addc_u32 s21, s15, s21
	global_store_dwordx2 v5, v[1:2], s[20:21]
	v_mov_b32_e32 v1, s22
	s_waitcnt vmcnt(0)
	buffer_wbinvl1_vol
	global_atomic_inc v1, v5, v1, s[16:17] glc
	s_waitcnt vmcnt(0)
	v_cmp_eq_u32_e32 vcc, s22, v1
	v_cndmask_b32_e64 v5, 0, 1, vcc
.LBB3_126:
	s_or_b64 exec, exec, s[10:11]
	s_nop 0
	v_or_b32_dpp v1, v5, v5 row_shl:1 row_mask:0xf bank_mask:0xf bound_ctrl:1
	s_bitcmp1_b32 exec_hi, 0
	s_nop 0
	v_or_b32_dpp v1, v1, v1 row_shl:2 row_mask:0xf bank_mask:0xf bound_ctrl:1
	s_nop 1
	v_or_b32_dpp v1, v1, v1 row_shl:4 row_mask:0xf bank_mask:0xf bound_ctrl:1
	;; [unrolled: 2-line block ×3, first 2 shown]
	s_nop 1
	v_mov_b32_dpp v2, v1 wave_shl:1 row_mask:0xf bank_mask:0xf bound_ctrl:1
	s_nop 1
	v_or_b32_dpp v1, v2, v1 row_mirror row_mask:0xf bank_mask:0xf bound_ctrl:1
	v_readlane_b32 s7, v1, 32
	s_cselect_b32 s7, s7, 0
	v_readlane_b32 s10, v1, 0
	s_or_b32 s7, s7, s10
	s_and_b64 vcc, exec, s[8:9]
	v_mov_b32_e32 v1, s7
	s_cbranch_vccnz .LBB3_133
; %bb.127:
	v_mad_u64_u32 v[1:2], s[10:11], v24, v23, v[0:1]
	v_lshrrev_b32_e32 v2, 6, v1
	v_or_b32_e32 v2, v2, v22
	v_cmp_eq_u32_e32 vcc, 0, v2
	s_and_saveexec_b64 s[10:11], vcc
; %bb.128:
	v_mov_b32_e32 v2, 0
	v_mov_b32_e32 v5, s7
	ds_write_b32 v2, v5
; %bb.129:
	s_or_b64 exec, exec, s[10:11]
	v_cmp_eq_u32_e32 vcc, 0, v22
	v_cmp_lt_u32_e64 s[10:11], 63, v1
	s_and_b64 s[16:17], vcc, s[10:11]
	s_waitcnt lgkmcnt(0)
	s_barrier
	s_and_saveexec_b64 s[10:11], s[16:17]
	s_cbranch_execz .LBB3_132
; %bb.130:
	v_mbcnt_lo_u32_b32 v1, exec_lo, 0
	v_mbcnt_hi_u32_b32 v1, exec_hi, v1
	v_cmp_eq_u32_e32 vcc, 0, v1
	s_and_b64 exec, exec, vcc
; %bb.131:
	v_mov_b32_e32 v1, 0
	v_mov_b32_e32 v2, s7
	ds_or_b32 v1, v2
.LBB3_132:
	s_or_b64 exec, exec, s[10:11]
	v_mov_b32_e32 v1, 0
	s_waitcnt lgkmcnt(0)
	s_barrier
	ds_read_b32 v1, v1
	s_waitcnt lgkmcnt(0)
	s_barrier
.LBB3_133:
	v_cmp_eq_u32_e32 vcc, 0, v1
	s_cbranch_vccnz .LBB3_147
; %bb.134:
	v_cmp_gt_i32_e32 vcc, s33, v0
	v_mov_b32_e32 v1, -1
	v_mov_b32_e32 v2, 0xffefffff
	buffer_wbinvl1_vol
	s_and_saveexec_b64 s[16:17], vcc
	s_cbranch_execz .LBB3_138
; %bb.135:
	v_lshlrev_b32_e32 v5, 3, v0
	v_mov_b32_e32 v6, s15
	v_add_co_u32_e32 v5, vcc, s14, v5
	v_addc_co_u32_e32 v6, vcc, 0, v6, vcc
	s_mov_b64 s[14:15], 0
	v_mov_b32_e32 v7, v0
.LBB3_136:                              ; =>This Inner Loop Header: Depth=1
	global_load_dwordx2 v[8:9], v[5:6], off
	v_add_co_u32_e32 v5, vcc, 0x800, v5
	v_add_u32_e32 v7, 0x100, v7
	v_addc_co_u32_e32 v6, vcc, 0, v6, vcc
	v_cmp_le_i32_e32 vcc, s33, v7
	s_or_b64 s[14:15], vcc, s[14:15]
	s_waitcnt vmcnt(0)
	v_cmp_lt_f64_e64 s[10:11], v[1:2], v[8:9]
	v_cndmask_b32_e64 v2, v2, v9, s[10:11]
	v_cndmask_b32_e64 v1, v1, v8, s[10:11]
	s_andn2_b64 exec, exec, s[14:15]
	s_cbranch_execnz .LBB3_136
; %bb.137:
	s_or_b64 exec, exec, s[14:15]
.LBB3_138:
	s_or_b64 exec, exec, s[16:17]
	ds_bpermute_b32 v5, v18, v1
	ds_bpermute_b32 v6, v18, v2
	s_waitcnt lgkmcnt(0)
	v_cmp_lt_f64_e32 vcc, v[1:2], v[5:6]
	v_cndmask_b32_e32 v2, v2, v6, vcc
	v_cndmask_b32_e32 v1, v1, v5, vcc
	ds_bpermute_b32 v6, v17, v2
	ds_bpermute_b32 v5, v17, v1
	s_waitcnt lgkmcnt(0)
	v_cmp_lt_f64_e32 vcc, v[1:2], v[5:6]
	v_cndmask_b32_e32 v2, v2, v6, vcc
	v_cndmask_b32_e32 v1, v1, v5, vcc
	;; [unrolled: 6-line block ×6, first 2 shown]
	s_and_saveexec_b64 s[10:11], s[2:3]
; %bb.139:
	v_lshrrev_b32_e32 v5, 3, v0
	ds_write_b64 v5, v[1:2] offset:384
; %bb.140:
	s_or_b64 exec, exec, s[10:11]
	s_waitcnt lgkmcnt(0)
	s_barrier
	s_and_saveexec_b64 s[10:11], s[4:5]
	s_cbranch_execz .LBB3_144
; %bb.141:
	v_cmp_gt_u32_e32 vcc, 4, v19
	v_mov_b32_e32 v1, -1
	v_mov_b32_e32 v2, 0xffefffff
	s_and_saveexec_b64 s[14:15], vcc
; %bb.142:
	v_lshlrev_b32_e32 v1, 3, v19
	ds_read_b64 v[1:2], v1 offset:384
; %bb.143:
	s_or_b64 exec, exec, s[14:15]
	s_waitcnt lgkmcnt(0)
	ds_bpermute_b32 v7, v18, v2
	ds_bpermute_b32 v5, v18, v1
	s_waitcnt lgkmcnt(1)
	v_mov_b32_e32 v6, v7
	s_waitcnt lgkmcnt(0)
	v_cmp_lt_f64_e32 vcc, v[1:2], v[5:6]
	v_cndmask_b32_e32 v2, v2, v7, vcc
	ds_bpermute_b32 v7, v17, v2
	v_cndmask_b32_e32 v1, v1, v5, vcc
	ds_bpermute_b32 v5, v17, v1
	s_waitcnt lgkmcnt(1)
	v_mov_b32_e32 v6, v7
	s_waitcnt lgkmcnt(0)
	v_cmp_lt_f64_e32 vcc, v[1:2], v[5:6]
	v_cndmask_b32_e32 v2, v2, v7, vcc
	ds_bpermute_b32 v7, v16, v2
	v_cndmask_b32_e32 v1, v1, v5, vcc
	ds_bpermute_b32 v5, v16, v1
	s_waitcnt lgkmcnt(1)
	v_mov_b32_e32 v6, v7
	s_waitcnt lgkmcnt(0)
	v_cmp_lt_f64_e32 vcc, v[1:2], v[5:6]
	v_cndmask_b32_e32 v2, v2, v7, vcc
	v_cndmask_b32_e32 v1, v1, v5, vcc
	ds_bpermute_b32 v7, v15, v2
	ds_bpermute_b32 v5, v15, v1
	s_waitcnt lgkmcnt(1)
	v_mov_b32_e32 v6, v7
	s_waitcnt lgkmcnt(0)
	v_cmp_lt_f64_e32 vcc, v[1:2], v[5:6]
	v_cndmask_b32_e32 v2, v2, v7, vcc
	v_cndmask_b32_e32 v1, v1, v5, vcc
.LBB3_144:
	s_or_b64 exec, exec, s[10:11]
	s_barrier
	s_and_saveexec_b64 s[10:11], s[0:1]
	s_cbranch_execz .LBB3_146
; %bb.145:
	v_mov_b32_e32 v5, 0
	global_store_dwordx2 v5, v[1:2], s[12:13]
.LBB3_146:
	s_or_b64 exec, exec, s[10:11]
.LBB3_147:
	ds_bpermute_b32 v1, v18, v3
	ds_bpermute_b32 v2, v18, v4
	s_waitcnt lgkmcnt(0)
	v_cmp_lt_f64_e32 vcc, v[3:4], v[1:2]
	v_cndmask_b32_e32 v2, v4, v2, vcc
	v_cndmask_b32_e32 v1, v3, v1, vcc
	ds_bpermute_b32 v4, v17, v2
	ds_bpermute_b32 v3, v17, v1
	s_waitcnt lgkmcnt(0)
	v_cmp_lt_f64_e32 vcc, v[1:2], v[3:4]
	v_cndmask_b32_e32 v2, v2, v4, vcc
	v_cndmask_b32_e32 v1, v1, v3, vcc
	ds_bpermute_b32 v4, v16, v2
	ds_bpermute_b32 v3, v16, v1
	s_waitcnt lgkmcnt(0)
	v_cmp_lt_f64_e32 vcc, v[1:2], v[3:4]
	v_cndmask_b32_e32 v2, v2, v4, vcc
	v_cndmask_b32_e32 v1, v1, v3, vcc
	ds_bpermute_b32 v4, v15, v2
	ds_bpermute_b32 v3, v15, v1
	s_waitcnt lgkmcnt(0)
	v_cmp_lt_f64_e32 vcc, v[1:2], v[3:4]
	v_cndmask_b32_e32 v2, v2, v4, vcc
	v_cndmask_b32_e32 v1, v1, v3, vcc
	ds_bpermute_b32 v4, v20, v2
	ds_bpermute_b32 v3, v20, v1
	s_waitcnt lgkmcnt(0)
	v_cmp_lt_f64_e32 vcc, v[1:2], v[3:4]
	v_cndmask_b32_e32 v2, v2, v4, vcc
	v_cndmask_b32_e32 v1, v1, v3, vcc
	ds_bpermute_b32 v3, v21, v1
	ds_bpermute_b32 v4, v21, v2
	s_waitcnt lgkmcnt(0)
	v_cmp_lt_f64_e32 vcc, v[1:2], v[3:4]
	v_cndmask_b32_e32 v2, v2, v4, vcc
	v_cndmask_b32_e32 v1, v1, v3, vcc
	s_and_saveexec_b64 s[10:11], s[2:3]
; %bb.148:
	v_lshrrev_b32_e32 v3, 3, v0
	ds_write_b64 v3, v[1:2] offset:384
; %bb.149:
	s_or_b64 exec, exec, s[10:11]
	s_waitcnt vmcnt(0) lgkmcnt(0)
	s_barrier
	s_and_saveexec_b64 s[10:11], s[4:5]
	s_cbranch_execz .LBB3_153
; %bb.150:
	v_cmp_gt_u32_e32 vcc, 4, v19
	v_mov_b32_e32 v1, -1
	v_mov_b32_e32 v2, 0xffefffff
	s_and_saveexec_b64 s[12:13], vcc
; %bb.151:
	v_lshlrev_b32_e32 v1, 3, v19
	ds_read_b64 v[1:2], v1 offset:384
; %bb.152:
	s_or_b64 exec, exec, s[12:13]
	s_waitcnt lgkmcnt(0)
	ds_bpermute_b32 v5, v18, v2
	ds_bpermute_b32 v3, v18, v1
	s_waitcnt lgkmcnt(1)
	v_mov_b32_e32 v4, v5
	s_waitcnt lgkmcnt(0)
	v_cmp_lt_f64_e32 vcc, v[1:2], v[3:4]
	v_cndmask_b32_e32 v2, v2, v5, vcc
	ds_bpermute_b32 v5, v17, v2
	v_cndmask_b32_e32 v1, v1, v3, vcc
	ds_bpermute_b32 v3, v17, v1
	s_waitcnt lgkmcnt(1)
	v_mov_b32_e32 v4, v5
	s_waitcnt lgkmcnt(0)
	v_cmp_lt_f64_e32 vcc, v[1:2], v[3:4]
	v_cndmask_b32_e32 v2, v2, v5, vcc
	ds_bpermute_b32 v5, v16, v2
	v_cndmask_b32_e32 v1, v1, v3, vcc
	ds_bpermute_b32 v3, v16, v1
	s_waitcnt lgkmcnt(1)
	v_mov_b32_e32 v4, v5
	s_waitcnt lgkmcnt(0)
	v_cmp_lt_f64_e32 vcc, v[1:2], v[3:4]
	v_cndmask_b32_e32 v2, v2, v5, vcc
	v_cndmask_b32_e32 v1, v1, v3, vcc
	ds_bpermute_b32 v5, v15, v2
	ds_bpermute_b32 v3, v15, v1
	s_waitcnt lgkmcnt(1)
	v_mov_b32_e32 v4, v5
	s_waitcnt lgkmcnt(0)
	v_cmp_lt_f64_e32 vcc, v[1:2], v[3:4]
	v_cndmask_b32_e32 v2, v2, v5, vcc
	v_cndmask_b32_e32 v1, v1, v3, vcc
.LBB3_153:
	s_or_b64 exec, exec, s[10:11]
	v_mov_b32_e32 v3, 0
	s_barrier
	s_and_saveexec_b64 s[10:11], s[0:1]
	s_cbranch_execz .LBB3_155
; %bb.154:
	s_ashr_i32 s7, s6, 31
	s_add_i32 s12, s33, -1
	s_lshl_b64 s[6:7], s[6:7], 3
	s_add_u32 s6, s30, s6
	v_mov_b32_e32 v3, 0
	s_addc_u32 s7, s31, s7
	global_store_dwordx2 v3, v[1:2], s[6:7]
	v_mov_b32_e32 v1, s12
	s_waitcnt vmcnt(0)
	buffer_wbinvl1_vol
	global_atomic_inc v1, v3, v1, s[18:19] glc
	s_waitcnt vmcnt(0)
	v_cmp_eq_u32_e32 vcc, s12, v1
	v_cndmask_b32_e64 v3, 0, 1, vcc
.LBB3_155:
	s_or_b64 exec, exec, s[10:11]
	s_nop 0
	v_or_b32_dpp v1, v3, v3 row_shl:1 row_mask:0xf bank_mask:0xf bound_ctrl:1
	s_bitcmp1_b32 exec_hi, 0
	s_nop 0
	v_or_b32_dpp v1, v1, v1 row_shl:2 row_mask:0xf bank_mask:0xf bound_ctrl:1
	s_nop 1
	v_or_b32_dpp v1, v1, v1 row_shl:4 row_mask:0xf bank_mask:0xf bound_ctrl:1
	;; [unrolled: 2-line block ×3, first 2 shown]
	s_nop 1
	v_mov_b32_dpp v2, v1 wave_shl:1 row_mask:0xf bank_mask:0xf bound_ctrl:1
	s_nop 1
	v_or_b32_dpp v1, v2, v1 row_mirror row_mask:0xf bank_mask:0xf bound_ctrl:1
	v_readlane_b32 s6, v1, 32
	s_cselect_b32 s6, s6, 0
	v_readlane_b32 s7, v1, 0
	s_or_b32 s10, s6, s7
	s_and_b64 vcc, exec, s[8:9]
	v_mov_b32_e32 v1, s10
	s_cbranch_vccnz .LBB3_162
; %bb.156:
	v_mad_u64_u32 v[1:2], s[6:7], v24, v23, v[0:1]
	v_lshrrev_b32_e32 v2, 6, v1
	v_or_b32_e32 v2, v2, v22
	v_cmp_eq_u32_e32 vcc, 0, v2
	s_and_saveexec_b64 s[6:7], vcc
; %bb.157:
	v_mov_b32_e32 v2, 0
	v_mov_b32_e32 v3, s10
	ds_write_b32 v2, v3
; %bb.158:
	s_or_b64 exec, exec, s[6:7]
	v_cmp_eq_u32_e32 vcc, 0, v22
	v_cmp_lt_u32_e64 s[6:7], 63, v1
	s_and_b64 s[8:9], vcc, s[6:7]
	s_waitcnt lgkmcnt(0)
	s_barrier
	s_and_saveexec_b64 s[6:7], s[8:9]
	s_cbranch_execz .LBB3_161
; %bb.159:
	v_mbcnt_lo_u32_b32 v1, exec_lo, 0
	v_mbcnt_hi_u32_b32 v1, exec_hi, v1
	v_cmp_eq_u32_e32 vcc, 0, v1
	s_and_b64 exec, exec, vcc
; %bb.160:
	v_mov_b32_e32 v1, 0
	v_mov_b32_e32 v2, s10
	ds_or_b32 v1, v2
.LBB3_161:
	s_or_b64 exec, exec, s[6:7]
	v_mov_b32_e32 v1, 0
	s_waitcnt lgkmcnt(0)
	s_barrier
	ds_read_b32 v1, v1
	s_waitcnt lgkmcnt(0)
	s_barrier
.LBB3_162:
	v_cmp_eq_u32_e32 vcc, 0, v1
	s_cbranch_vccnz .LBB3_175
; %bb.163:
	v_cmp_gt_i32_e32 vcc, s33, v0
	v_mov_b32_e32 v1, -1
	v_mov_b32_e32 v2, 0xffefffff
	buffer_wbinvl1_vol
	s_and_saveexec_b64 s[8:9], vcc
	s_cbranch_execz .LBB3_167
; %bb.164:
	v_lshlrev_b32_e32 v3, 3, v0
	v_mov_b32_e32 v4, s31
	v_add_co_u32_e32 v3, vcc, s30, v3
	v_addc_co_u32_e32 v4, vcc, 0, v4, vcc
	s_mov_b64 s[10:11], 0
	v_mov_b32_e32 v5, v0
.LBB3_165:                              ; =>This Inner Loop Header: Depth=1
	global_load_dwordx2 v[6:7], v[3:4], off
	v_add_co_u32_e32 v3, vcc, 0x800, v3
	v_add_u32_e32 v5, 0x100, v5
	v_addc_co_u32_e32 v4, vcc, 0, v4, vcc
	v_cmp_le_i32_e32 vcc, s33, v5
	s_or_b64 s[10:11], vcc, s[10:11]
	s_waitcnt vmcnt(0)
	v_cmp_lt_f64_e64 s[6:7], v[1:2], v[6:7]
	v_cndmask_b32_e64 v2, v2, v7, s[6:7]
	v_cndmask_b32_e64 v1, v1, v6, s[6:7]
	s_andn2_b64 exec, exec, s[10:11]
	s_cbranch_execnz .LBB3_165
; %bb.166:
	s_or_b64 exec, exec, s[10:11]
.LBB3_167:
	s_or_b64 exec, exec, s[8:9]
	ds_bpermute_b32 v3, v18, v1
	ds_bpermute_b32 v4, v18, v2
	s_waitcnt lgkmcnt(0)
	v_cmp_lt_f64_e32 vcc, v[1:2], v[3:4]
	v_cndmask_b32_e32 v2, v2, v4, vcc
	v_cndmask_b32_e32 v1, v1, v3, vcc
	ds_bpermute_b32 v4, v17, v2
	ds_bpermute_b32 v3, v17, v1
	s_waitcnt lgkmcnt(0)
	v_cmp_lt_f64_e32 vcc, v[1:2], v[3:4]
	v_cndmask_b32_e32 v2, v2, v4, vcc
	v_cndmask_b32_e32 v1, v1, v3, vcc
	;; [unrolled: 6-line block ×6, first 2 shown]
	s_and_saveexec_b64 s[6:7], s[2:3]
; %bb.168:
	v_lshrrev_b32_e32 v0, 3, v0
	ds_write_b64 v0, v[1:2] offset:384
; %bb.169:
	s_or_b64 exec, exec, s[6:7]
	s_waitcnt lgkmcnt(0)
	s_barrier
	s_and_saveexec_b64 s[2:3], s[4:5]
	s_cbranch_execz .LBB3_173
; %bb.170:
	v_cmp_gt_u32_e32 vcc, 4, v19
	v_mov_b32_e32 v0, -1
	v_mov_b32_e32 v1, 0xffefffff
	s_and_saveexec_b64 s[4:5], vcc
; %bb.171:
	v_lshlrev_b32_e32 v0, 3, v19
	ds_read_b64 v[0:1], v0 offset:384
; %bb.172:
	s_or_b64 exec, exec, s[4:5]
	s_waitcnt lgkmcnt(0)
	ds_bpermute_b32 v4, v18, v1
	ds_bpermute_b32 v2, v18, v0
	s_waitcnt lgkmcnt(1)
	v_mov_b32_e32 v3, v4
	s_waitcnt lgkmcnt(0)
	v_cmp_lt_f64_e32 vcc, v[0:1], v[2:3]
	v_cndmask_b32_e32 v1, v1, v4, vcc
	ds_bpermute_b32 v4, v17, v1
	v_cndmask_b32_e32 v0, v0, v2, vcc
	ds_bpermute_b32 v2, v17, v0
	s_waitcnt lgkmcnt(1)
	v_mov_b32_e32 v3, v4
	s_waitcnt lgkmcnt(0)
	v_cmp_lt_f64_e32 vcc, v[0:1], v[2:3]
	v_cndmask_b32_e32 v1, v1, v4, vcc
	ds_bpermute_b32 v4, v16, v1
	v_cndmask_b32_e32 v0, v0, v2, vcc
	ds_bpermute_b32 v2, v16, v0
	s_waitcnt lgkmcnt(1)
	v_mov_b32_e32 v3, v4
	s_waitcnt lgkmcnt(0)
	v_cmp_lt_f64_e32 vcc, v[0:1], v[2:3]
	v_cndmask_b32_e32 v1, v1, v4, vcc
	v_cndmask_b32_e32 v0, v0, v2, vcc
	ds_bpermute_b32 v2, v15, v1
	ds_bpermute_b32 v3, v15, v0
	s_waitcnt lgkmcnt(1)
	v_mov_b32_e32 v4, v2
	s_waitcnt lgkmcnt(0)
	v_cmp_lt_f64_e32 vcc, v[0:1], v[3:4]
	v_cndmask_b32_e32 v2, v1, v2, vcc
	v_cndmask_b32_e32 v1, v0, v3, vcc
.LBB3_173:
	s_or_b64 exec, exec, s[2:3]
	s_barrier
	s_and_saveexec_b64 s[2:3], s[0:1]
	s_cbranch_execz .LBB3_175
; %bb.174:
	v_mov_b32_e32 v0, 0
	global_store_dwordx2 v0, v[1:2], s[28:29]
.LBB3_175:
	s_endpgm
	.section	.rodata,"a",@progbits
	.p2align	6, 0x0
	.amdhsa_kernel _ZN4RAJA6policy3hip4impl18forallp_hip_kernelINS1_8hip_execINS_17iteration_mapping6DirectENS_3hip11IndexGlobalILNS_9named_dimE0ELi256ELi0EEENS7_40AvoidDeviceMaxThreadOccupancyConcretizerINS7_34FractionOffsetOccupancyConcretizerINS_8FractionImLm1ELm1EEELln1EEEEELb1EEENS_9Iterators16numeric_iteratorIllPlEEZN8rajaperf5basic13REDUCE_STRUCT26runHipVariantRAJANewReduceILm256ENSM_11gpu_mapping20global_direct_helperEEEvNSM_9VariantIDEEUllRNS_4expt5ValOpIdNS_9operators4plusEEESY_RNSU_IdNSV_7minimumEEES11_RNSU_IdNSV_7maximumEEES14_E_lNST_15ForallParamPackIJNST_6detail7ReducerINSW_IdddEEdSX_EES1A_NS18_INSZ_IdddEEdS10_EES1C_NS18_INS12_IdddEEdS13_EES1E_EEES6_SA_TnNSt9enable_ifIXaasr3std10is_base_ofINS5_10DirectBaseET4_EE5valuegtsrT5_10block_sizeLi0EEmE4typeELm256EEEvT1_T0_T2_T3_
		.amdhsa_group_segment_fixed_size 640
		.amdhsa_private_segment_fixed_size 0
		.amdhsa_kernarg_size 528
		.amdhsa_user_sgpr_count 6
		.amdhsa_user_sgpr_private_segment_buffer 1
		.amdhsa_user_sgpr_dispatch_ptr 0
		.amdhsa_user_sgpr_queue_ptr 0
		.amdhsa_user_sgpr_kernarg_segment_ptr 1
		.amdhsa_user_sgpr_dispatch_id 0
		.amdhsa_user_sgpr_flat_scratch_init 0
		.amdhsa_user_sgpr_private_segment_size 0
		.amdhsa_uses_dynamic_stack 0
		.amdhsa_system_sgpr_private_segment_wavefront_offset 0
		.amdhsa_system_sgpr_workgroup_id_x 1
		.amdhsa_system_sgpr_workgroup_id_y 0
		.amdhsa_system_sgpr_workgroup_id_z 0
		.amdhsa_system_sgpr_workgroup_info 0
		.amdhsa_system_vgpr_workitem_id 2
		.amdhsa_next_free_vgpr 28
		.amdhsa_next_free_sgpr 60
		.amdhsa_reserve_vcc 1
		.amdhsa_reserve_flat_scratch 0
		.amdhsa_float_round_mode_32 0
		.amdhsa_float_round_mode_16_64 0
		.amdhsa_float_denorm_mode_32 3
		.amdhsa_float_denorm_mode_16_64 3
		.amdhsa_dx10_clamp 1
		.amdhsa_ieee_mode 1
		.amdhsa_fp16_overflow 0
		.amdhsa_exception_fp_ieee_invalid_op 0
		.amdhsa_exception_fp_denorm_src 0
		.amdhsa_exception_fp_ieee_div_zero 0
		.amdhsa_exception_fp_ieee_overflow 0
		.amdhsa_exception_fp_ieee_underflow 0
		.amdhsa_exception_fp_ieee_inexact 0
		.amdhsa_exception_int_div_zero 0
	.end_amdhsa_kernel
	.section	.text._ZN4RAJA6policy3hip4impl18forallp_hip_kernelINS1_8hip_execINS_17iteration_mapping6DirectENS_3hip11IndexGlobalILNS_9named_dimE0ELi256ELi0EEENS7_40AvoidDeviceMaxThreadOccupancyConcretizerINS7_34FractionOffsetOccupancyConcretizerINS_8FractionImLm1ELm1EEELln1EEEEELb1EEENS_9Iterators16numeric_iteratorIllPlEEZN8rajaperf5basic13REDUCE_STRUCT26runHipVariantRAJANewReduceILm256ENSM_11gpu_mapping20global_direct_helperEEEvNSM_9VariantIDEEUllRNS_4expt5ValOpIdNS_9operators4plusEEESY_RNSU_IdNSV_7minimumEEES11_RNSU_IdNSV_7maximumEEES14_E_lNST_15ForallParamPackIJNST_6detail7ReducerINSW_IdddEEdSX_EES1A_NS18_INSZ_IdddEEdS10_EES1C_NS18_INS12_IdddEEdS13_EES1E_EEES6_SA_TnNSt9enable_ifIXaasr3std10is_base_ofINS5_10DirectBaseET4_EE5valuegtsrT5_10block_sizeLi0EEmE4typeELm256EEEvT1_T0_T2_T3_,"axG",@progbits,_ZN4RAJA6policy3hip4impl18forallp_hip_kernelINS1_8hip_execINS_17iteration_mapping6DirectENS_3hip11IndexGlobalILNS_9named_dimE0ELi256ELi0EEENS7_40AvoidDeviceMaxThreadOccupancyConcretizerINS7_34FractionOffsetOccupancyConcretizerINS_8FractionImLm1ELm1EEELln1EEEEELb1EEENS_9Iterators16numeric_iteratorIllPlEEZN8rajaperf5basic13REDUCE_STRUCT26runHipVariantRAJANewReduceILm256ENSM_11gpu_mapping20global_direct_helperEEEvNSM_9VariantIDEEUllRNS_4expt5ValOpIdNS_9operators4plusEEESY_RNSU_IdNSV_7minimumEEES11_RNSU_IdNSV_7maximumEEES14_E_lNST_15ForallParamPackIJNST_6detail7ReducerINSW_IdddEEdSX_EES1A_NS18_INSZ_IdddEEdS10_EES1C_NS18_INS12_IdddEEdS13_EES1E_EEES6_SA_TnNSt9enable_ifIXaasr3std10is_base_ofINS5_10DirectBaseET4_EE5valuegtsrT5_10block_sizeLi0EEmE4typeELm256EEEvT1_T0_T2_T3_,comdat
.Lfunc_end3:
	.size	_ZN4RAJA6policy3hip4impl18forallp_hip_kernelINS1_8hip_execINS_17iteration_mapping6DirectENS_3hip11IndexGlobalILNS_9named_dimE0ELi256ELi0EEENS7_40AvoidDeviceMaxThreadOccupancyConcretizerINS7_34FractionOffsetOccupancyConcretizerINS_8FractionImLm1ELm1EEELln1EEEEELb1EEENS_9Iterators16numeric_iteratorIllPlEEZN8rajaperf5basic13REDUCE_STRUCT26runHipVariantRAJANewReduceILm256ENSM_11gpu_mapping20global_direct_helperEEEvNSM_9VariantIDEEUllRNS_4expt5ValOpIdNS_9operators4plusEEESY_RNSU_IdNSV_7minimumEEES11_RNSU_IdNSV_7maximumEEES14_E_lNST_15ForallParamPackIJNST_6detail7ReducerINSW_IdddEEdSX_EES1A_NS18_INSZ_IdddEEdS10_EES1C_NS18_INS12_IdddEEdS13_EES1E_EEES6_SA_TnNSt9enable_ifIXaasr3std10is_base_ofINS5_10DirectBaseET4_EE5valuegtsrT5_10block_sizeLi0EEmE4typeELm256EEEvT1_T0_T2_T3_, .Lfunc_end3-_ZN4RAJA6policy3hip4impl18forallp_hip_kernelINS1_8hip_execINS_17iteration_mapping6DirectENS_3hip11IndexGlobalILNS_9named_dimE0ELi256ELi0EEENS7_40AvoidDeviceMaxThreadOccupancyConcretizerINS7_34FractionOffsetOccupancyConcretizerINS_8FractionImLm1ELm1EEELln1EEEEELb1EEENS_9Iterators16numeric_iteratorIllPlEEZN8rajaperf5basic13REDUCE_STRUCT26runHipVariantRAJANewReduceILm256ENSM_11gpu_mapping20global_direct_helperEEEvNSM_9VariantIDEEUllRNS_4expt5ValOpIdNS_9operators4plusEEESY_RNSU_IdNSV_7minimumEEES11_RNSU_IdNSV_7maximumEEES14_E_lNST_15ForallParamPackIJNST_6detail7ReducerINSW_IdddEEdSX_EES1A_NS18_INSZ_IdddEEdS10_EES1C_NS18_INS12_IdddEEdS13_EES1E_EEES6_SA_TnNSt9enable_ifIXaasr3std10is_base_ofINS5_10DirectBaseET4_EE5valuegtsrT5_10block_sizeLi0EEmE4typeELm256EEEvT1_T0_T2_T3_
                                        ; -- End function
	.set _ZN4RAJA6policy3hip4impl18forallp_hip_kernelINS1_8hip_execINS_17iteration_mapping6DirectENS_3hip11IndexGlobalILNS_9named_dimE0ELi256ELi0EEENS7_40AvoidDeviceMaxThreadOccupancyConcretizerINS7_34FractionOffsetOccupancyConcretizerINS_8FractionImLm1ELm1EEELln1EEEEELb1EEENS_9Iterators16numeric_iteratorIllPlEEZN8rajaperf5basic13REDUCE_STRUCT26runHipVariantRAJANewReduceILm256ENSM_11gpu_mapping20global_direct_helperEEEvNSM_9VariantIDEEUllRNS_4expt5ValOpIdNS_9operators4plusEEESY_RNSU_IdNSV_7minimumEEES11_RNSU_IdNSV_7maximumEEES14_E_lNST_15ForallParamPackIJNST_6detail7ReducerINSW_IdddEEdSX_EES1A_NS18_INSZ_IdddEEdS10_EES1C_NS18_INS12_IdddEEdS13_EES1E_EEES6_SA_TnNSt9enable_ifIXaasr3std10is_base_ofINS5_10DirectBaseET4_EE5valuegtsrT5_10block_sizeLi0EEmE4typeELm256EEEvT1_T0_T2_T3_.num_vgpr, 28
	.set _ZN4RAJA6policy3hip4impl18forallp_hip_kernelINS1_8hip_execINS_17iteration_mapping6DirectENS_3hip11IndexGlobalILNS_9named_dimE0ELi256ELi0EEENS7_40AvoidDeviceMaxThreadOccupancyConcretizerINS7_34FractionOffsetOccupancyConcretizerINS_8FractionImLm1ELm1EEELln1EEEEELb1EEENS_9Iterators16numeric_iteratorIllPlEEZN8rajaperf5basic13REDUCE_STRUCT26runHipVariantRAJANewReduceILm256ENSM_11gpu_mapping20global_direct_helperEEEvNSM_9VariantIDEEUllRNS_4expt5ValOpIdNS_9operators4plusEEESY_RNSU_IdNSV_7minimumEEES11_RNSU_IdNSV_7maximumEEES14_E_lNST_15ForallParamPackIJNST_6detail7ReducerINSW_IdddEEdSX_EES1A_NS18_INSZ_IdddEEdS10_EES1C_NS18_INS12_IdddEEdS13_EES1E_EEES6_SA_TnNSt9enable_ifIXaasr3std10is_base_ofINS5_10DirectBaseET4_EE5valuegtsrT5_10block_sizeLi0EEmE4typeELm256EEEvT1_T0_T2_T3_.num_agpr, 0
	.set _ZN4RAJA6policy3hip4impl18forallp_hip_kernelINS1_8hip_execINS_17iteration_mapping6DirectENS_3hip11IndexGlobalILNS_9named_dimE0ELi256ELi0EEENS7_40AvoidDeviceMaxThreadOccupancyConcretizerINS7_34FractionOffsetOccupancyConcretizerINS_8FractionImLm1ELm1EEELln1EEEEELb1EEENS_9Iterators16numeric_iteratorIllPlEEZN8rajaperf5basic13REDUCE_STRUCT26runHipVariantRAJANewReduceILm256ENSM_11gpu_mapping20global_direct_helperEEEvNSM_9VariantIDEEUllRNS_4expt5ValOpIdNS_9operators4plusEEESY_RNSU_IdNSV_7minimumEEES11_RNSU_IdNSV_7maximumEEES14_E_lNST_15ForallParamPackIJNST_6detail7ReducerINSW_IdddEEdSX_EES1A_NS18_INSZ_IdddEEdS10_EES1C_NS18_INS12_IdddEEdS13_EES1E_EEES6_SA_TnNSt9enable_ifIXaasr3std10is_base_ofINS5_10DirectBaseET4_EE5valuegtsrT5_10block_sizeLi0EEmE4typeELm256EEEvT1_T0_T2_T3_.numbered_sgpr, 60
	.set _ZN4RAJA6policy3hip4impl18forallp_hip_kernelINS1_8hip_execINS_17iteration_mapping6DirectENS_3hip11IndexGlobalILNS_9named_dimE0ELi256ELi0EEENS7_40AvoidDeviceMaxThreadOccupancyConcretizerINS7_34FractionOffsetOccupancyConcretizerINS_8FractionImLm1ELm1EEELln1EEEEELb1EEENS_9Iterators16numeric_iteratorIllPlEEZN8rajaperf5basic13REDUCE_STRUCT26runHipVariantRAJANewReduceILm256ENSM_11gpu_mapping20global_direct_helperEEEvNSM_9VariantIDEEUllRNS_4expt5ValOpIdNS_9operators4plusEEESY_RNSU_IdNSV_7minimumEEES11_RNSU_IdNSV_7maximumEEES14_E_lNST_15ForallParamPackIJNST_6detail7ReducerINSW_IdddEEdSX_EES1A_NS18_INSZ_IdddEEdS10_EES1C_NS18_INS12_IdddEEdS13_EES1E_EEES6_SA_TnNSt9enable_ifIXaasr3std10is_base_ofINS5_10DirectBaseET4_EE5valuegtsrT5_10block_sizeLi0EEmE4typeELm256EEEvT1_T0_T2_T3_.num_named_barrier, 0
	.set _ZN4RAJA6policy3hip4impl18forallp_hip_kernelINS1_8hip_execINS_17iteration_mapping6DirectENS_3hip11IndexGlobalILNS_9named_dimE0ELi256ELi0EEENS7_40AvoidDeviceMaxThreadOccupancyConcretizerINS7_34FractionOffsetOccupancyConcretizerINS_8FractionImLm1ELm1EEELln1EEEEELb1EEENS_9Iterators16numeric_iteratorIllPlEEZN8rajaperf5basic13REDUCE_STRUCT26runHipVariantRAJANewReduceILm256ENSM_11gpu_mapping20global_direct_helperEEEvNSM_9VariantIDEEUllRNS_4expt5ValOpIdNS_9operators4plusEEESY_RNSU_IdNSV_7minimumEEES11_RNSU_IdNSV_7maximumEEES14_E_lNST_15ForallParamPackIJNST_6detail7ReducerINSW_IdddEEdSX_EES1A_NS18_INSZ_IdddEEdS10_EES1C_NS18_INS12_IdddEEdS13_EES1E_EEES6_SA_TnNSt9enable_ifIXaasr3std10is_base_ofINS5_10DirectBaseET4_EE5valuegtsrT5_10block_sizeLi0EEmE4typeELm256EEEvT1_T0_T2_T3_.private_seg_size, 0
	.set _ZN4RAJA6policy3hip4impl18forallp_hip_kernelINS1_8hip_execINS_17iteration_mapping6DirectENS_3hip11IndexGlobalILNS_9named_dimE0ELi256ELi0EEENS7_40AvoidDeviceMaxThreadOccupancyConcretizerINS7_34FractionOffsetOccupancyConcretizerINS_8FractionImLm1ELm1EEELln1EEEEELb1EEENS_9Iterators16numeric_iteratorIllPlEEZN8rajaperf5basic13REDUCE_STRUCT26runHipVariantRAJANewReduceILm256ENSM_11gpu_mapping20global_direct_helperEEEvNSM_9VariantIDEEUllRNS_4expt5ValOpIdNS_9operators4plusEEESY_RNSU_IdNSV_7minimumEEES11_RNSU_IdNSV_7maximumEEES14_E_lNST_15ForallParamPackIJNST_6detail7ReducerINSW_IdddEEdSX_EES1A_NS18_INSZ_IdddEEdS10_EES1C_NS18_INS12_IdddEEdS13_EES1E_EEES6_SA_TnNSt9enable_ifIXaasr3std10is_base_ofINS5_10DirectBaseET4_EE5valuegtsrT5_10block_sizeLi0EEmE4typeELm256EEEvT1_T0_T2_T3_.uses_vcc, 1
	.set _ZN4RAJA6policy3hip4impl18forallp_hip_kernelINS1_8hip_execINS_17iteration_mapping6DirectENS_3hip11IndexGlobalILNS_9named_dimE0ELi256ELi0EEENS7_40AvoidDeviceMaxThreadOccupancyConcretizerINS7_34FractionOffsetOccupancyConcretizerINS_8FractionImLm1ELm1EEELln1EEEEELb1EEENS_9Iterators16numeric_iteratorIllPlEEZN8rajaperf5basic13REDUCE_STRUCT26runHipVariantRAJANewReduceILm256ENSM_11gpu_mapping20global_direct_helperEEEvNSM_9VariantIDEEUllRNS_4expt5ValOpIdNS_9operators4plusEEESY_RNSU_IdNSV_7minimumEEES11_RNSU_IdNSV_7maximumEEES14_E_lNST_15ForallParamPackIJNST_6detail7ReducerINSW_IdddEEdSX_EES1A_NS18_INSZ_IdddEEdS10_EES1C_NS18_INS12_IdddEEdS13_EES1E_EEES6_SA_TnNSt9enable_ifIXaasr3std10is_base_ofINS5_10DirectBaseET4_EE5valuegtsrT5_10block_sizeLi0EEmE4typeELm256EEEvT1_T0_T2_T3_.uses_flat_scratch, 0
	.set _ZN4RAJA6policy3hip4impl18forallp_hip_kernelINS1_8hip_execINS_17iteration_mapping6DirectENS_3hip11IndexGlobalILNS_9named_dimE0ELi256ELi0EEENS7_40AvoidDeviceMaxThreadOccupancyConcretizerINS7_34FractionOffsetOccupancyConcretizerINS_8FractionImLm1ELm1EEELln1EEEEELb1EEENS_9Iterators16numeric_iteratorIllPlEEZN8rajaperf5basic13REDUCE_STRUCT26runHipVariantRAJANewReduceILm256ENSM_11gpu_mapping20global_direct_helperEEEvNSM_9VariantIDEEUllRNS_4expt5ValOpIdNS_9operators4plusEEESY_RNSU_IdNSV_7minimumEEES11_RNSU_IdNSV_7maximumEEES14_E_lNST_15ForallParamPackIJNST_6detail7ReducerINSW_IdddEEdSX_EES1A_NS18_INSZ_IdddEEdS10_EES1C_NS18_INS12_IdddEEdS13_EES1E_EEES6_SA_TnNSt9enable_ifIXaasr3std10is_base_ofINS5_10DirectBaseET4_EE5valuegtsrT5_10block_sizeLi0EEmE4typeELm256EEEvT1_T0_T2_T3_.has_dyn_sized_stack, 0
	.set _ZN4RAJA6policy3hip4impl18forallp_hip_kernelINS1_8hip_execINS_17iteration_mapping6DirectENS_3hip11IndexGlobalILNS_9named_dimE0ELi256ELi0EEENS7_40AvoidDeviceMaxThreadOccupancyConcretizerINS7_34FractionOffsetOccupancyConcretizerINS_8FractionImLm1ELm1EEELln1EEEEELb1EEENS_9Iterators16numeric_iteratorIllPlEEZN8rajaperf5basic13REDUCE_STRUCT26runHipVariantRAJANewReduceILm256ENSM_11gpu_mapping20global_direct_helperEEEvNSM_9VariantIDEEUllRNS_4expt5ValOpIdNS_9operators4plusEEESY_RNSU_IdNSV_7minimumEEES11_RNSU_IdNSV_7maximumEEES14_E_lNST_15ForallParamPackIJNST_6detail7ReducerINSW_IdddEEdSX_EES1A_NS18_INSZ_IdddEEdS10_EES1C_NS18_INS12_IdddEEdS13_EES1E_EEES6_SA_TnNSt9enable_ifIXaasr3std10is_base_ofINS5_10DirectBaseET4_EE5valuegtsrT5_10block_sizeLi0EEmE4typeELm256EEEvT1_T0_T2_T3_.has_recursion, 0
	.set _ZN4RAJA6policy3hip4impl18forallp_hip_kernelINS1_8hip_execINS_17iteration_mapping6DirectENS_3hip11IndexGlobalILNS_9named_dimE0ELi256ELi0EEENS7_40AvoidDeviceMaxThreadOccupancyConcretizerINS7_34FractionOffsetOccupancyConcretizerINS_8FractionImLm1ELm1EEELln1EEEEELb1EEENS_9Iterators16numeric_iteratorIllPlEEZN8rajaperf5basic13REDUCE_STRUCT26runHipVariantRAJANewReduceILm256ENSM_11gpu_mapping20global_direct_helperEEEvNSM_9VariantIDEEUllRNS_4expt5ValOpIdNS_9operators4plusEEESY_RNSU_IdNSV_7minimumEEES11_RNSU_IdNSV_7maximumEEES14_E_lNST_15ForallParamPackIJNST_6detail7ReducerINSW_IdddEEdSX_EES1A_NS18_INSZ_IdddEEdS10_EES1C_NS18_INS12_IdddEEdS13_EES1E_EEES6_SA_TnNSt9enable_ifIXaasr3std10is_base_ofINS5_10DirectBaseET4_EE5valuegtsrT5_10block_sizeLi0EEmE4typeELm256EEEvT1_T0_T2_T3_.has_indirect_call, 0
	.section	.AMDGPU.csdata,"",@progbits
; Kernel info:
; codeLenInByte = 8652
; TotalNumSgprs: 64
; NumVgprs: 28
; ScratchSize: 0
; MemoryBound: 0
; FloatMode: 240
; IeeeMode: 1
; LDSByteSize: 640 bytes/workgroup (compile time only)
; SGPRBlocks: 7
; VGPRBlocks: 6
; NumSGPRsForWavesPerEU: 64
; NumVGPRsForWavesPerEU: 28
; Occupancy: 9
; WaveLimiterHint : 0
; COMPUTE_PGM_RSRC2:SCRATCH_EN: 0
; COMPUTE_PGM_RSRC2:USER_SGPR: 6
; COMPUTE_PGM_RSRC2:TRAP_HANDLER: 0
; COMPUTE_PGM_RSRC2:TGID_X_EN: 1
; COMPUTE_PGM_RSRC2:TGID_Y_EN: 0
; COMPUTE_PGM_RSRC2:TGID_Z_EN: 0
; COMPUTE_PGM_RSRC2:TIDIG_COMP_CNT: 2
	.section	.text._ZN4RAJA6policy3hip4impl18forallp_hip_kernelINS1_8hip_execINS_17iteration_mapping11StridedLoopILm0EEENS_3hip11IndexGlobalILNS_9named_dimE0ELi256ELi0EEENS8_40AvoidDeviceMaxThreadOccupancyConcretizerINS8_34FractionOffsetOccupancyConcretizerINS_8FractionImLm1ELm1EEELln1EEEEELb1EEENS_9Iterators16numeric_iteratorIllPlEEZN8rajaperf5basic13REDUCE_STRUCT17runHipVariantRAJAILm256ENSN_13gpu_algorithm19block_atomic_helperENSN_11gpu_mapping40global_loop_occupancy_grid_stride_helperEEEvNSN_9VariantIDEEUllE_lNS_4expt15ForallParamPackIJEEES7_SB_TnNSt9enable_ifIXaaaasr3std10is_base_ofINS5_15StridedLoopBaseET4_EE5valuesr3std10is_base_ofINS5_15UnsizedLoopBaseES12_EE5valuegtsrT5_10block_sizeLi0EEmE4typeELm256EEEvT1_T0_T2_T3_,"axG",@progbits,_ZN4RAJA6policy3hip4impl18forallp_hip_kernelINS1_8hip_execINS_17iteration_mapping11StridedLoopILm0EEENS_3hip11IndexGlobalILNS_9named_dimE0ELi256ELi0EEENS8_40AvoidDeviceMaxThreadOccupancyConcretizerINS8_34FractionOffsetOccupancyConcretizerINS_8FractionImLm1ELm1EEELln1EEEEELb1EEENS_9Iterators16numeric_iteratorIllPlEEZN8rajaperf5basic13REDUCE_STRUCT17runHipVariantRAJAILm256ENSN_13gpu_algorithm19block_atomic_helperENSN_11gpu_mapping40global_loop_occupancy_grid_stride_helperEEEvNSN_9VariantIDEEUllE_lNS_4expt15ForallParamPackIJEEES7_SB_TnNSt9enable_ifIXaaaasr3std10is_base_ofINS5_15StridedLoopBaseET4_EE5valuesr3std10is_base_ofINS5_15UnsizedLoopBaseES12_EE5valuegtsrT5_10block_sizeLi0EEmE4typeELm256EEEvT1_T0_T2_T3_,comdat
	.protected	_ZN4RAJA6policy3hip4impl18forallp_hip_kernelINS1_8hip_execINS_17iteration_mapping11StridedLoopILm0EEENS_3hip11IndexGlobalILNS_9named_dimE0ELi256ELi0EEENS8_40AvoidDeviceMaxThreadOccupancyConcretizerINS8_34FractionOffsetOccupancyConcretizerINS_8FractionImLm1ELm1EEELln1EEEEELb1EEENS_9Iterators16numeric_iteratorIllPlEEZN8rajaperf5basic13REDUCE_STRUCT17runHipVariantRAJAILm256ENSN_13gpu_algorithm19block_atomic_helperENSN_11gpu_mapping40global_loop_occupancy_grid_stride_helperEEEvNSN_9VariantIDEEUllE_lNS_4expt15ForallParamPackIJEEES7_SB_TnNSt9enable_ifIXaaaasr3std10is_base_ofINS5_15StridedLoopBaseET4_EE5valuesr3std10is_base_ofINS5_15UnsizedLoopBaseES12_EE5valuegtsrT5_10block_sizeLi0EEmE4typeELm256EEEvT1_T0_T2_T3_ ; -- Begin function _ZN4RAJA6policy3hip4impl18forallp_hip_kernelINS1_8hip_execINS_17iteration_mapping11StridedLoopILm0EEENS_3hip11IndexGlobalILNS_9named_dimE0ELi256ELi0EEENS8_40AvoidDeviceMaxThreadOccupancyConcretizerINS8_34FractionOffsetOccupancyConcretizerINS_8FractionImLm1ELm1EEELln1EEEEELb1EEENS_9Iterators16numeric_iteratorIllPlEEZN8rajaperf5basic13REDUCE_STRUCT17runHipVariantRAJAILm256ENSN_13gpu_algorithm19block_atomic_helperENSN_11gpu_mapping40global_loop_occupancy_grid_stride_helperEEEvNSN_9VariantIDEEUllE_lNS_4expt15ForallParamPackIJEEES7_SB_TnNSt9enable_ifIXaaaasr3std10is_base_ofINS5_15StridedLoopBaseET4_EE5valuesr3std10is_base_ofINS5_15UnsizedLoopBaseES12_EE5valuegtsrT5_10block_sizeLi0EEmE4typeELm256EEEvT1_T0_T2_T3_
	.globl	_ZN4RAJA6policy3hip4impl18forallp_hip_kernelINS1_8hip_execINS_17iteration_mapping11StridedLoopILm0EEENS_3hip11IndexGlobalILNS_9named_dimE0ELi256ELi0EEENS8_40AvoidDeviceMaxThreadOccupancyConcretizerINS8_34FractionOffsetOccupancyConcretizerINS_8FractionImLm1ELm1EEELln1EEEEELb1EEENS_9Iterators16numeric_iteratorIllPlEEZN8rajaperf5basic13REDUCE_STRUCT17runHipVariantRAJAILm256ENSN_13gpu_algorithm19block_atomic_helperENSN_11gpu_mapping40global_loop_occupancy_grid_stride_helperEEEvNSN_9VariantIDEEUllE_lNS_4expt15ForallParamPackIJEEES7_SB_TnNSt9enable_ifIXaaaasr3std10is_base_ofINS5_15StridedLoopBaseET4_EE5valuesr3std10is_base_ofINS5_15UnsizedLoopBaseES12_EE5valuegtsrT5_10block_sizeLi0EEmE4typeELm256EEEvT1_T0_T2_T3_
	.p2align	8
	.type	_ZN4RAJA6policy3hip4impl18forallp_hip_kernelINS1_8hip_execINS_17iteration_mapping11StridedLoopILm0EEENS_3hip11IndexGlobalILNS_9named_dimE0ELi256ELi0EEENS8_40AvoidDeviceMaxThreadOccupancyConcretizerINS8_34FractionOffsetOccupancyConcretizerINS_8FractionImLm1ELm1EEELln1EEEEELb1EEENS_9Iterators16numeric_iteratorIllPlEEZN8rajaperf5basic13REDUCE_STRUCT17runHipVariantRAJAILm256ENSN_13gpu_algorithm19block_atomic_helperENSN_11gpu_mapping40global_loop_occupancy_grid_stride_helperEEEvNSN_9VariantIDEEUllE_lNS_4expt15ForallParamPackIJEEES7_SB_TnNSt9enable_ifIXaaaasr3std10is_base_ofINS5_15StridedLoopBaseET4_EE5valuesr3std10is_base_ofINS5_15UnsizedLoopBaseES12_EE5valuegtsrT5_10block_sizeLi0EEmE4typeELm256EEEvT1_T0_T2_T3_,@function
_ZN4RAJA6policy3hip4impl18forallp_hip_kernelINS1_8hip_execINS_17iteration_mapping11StridedLoopILm0EEENS_3hip11IndexGlobalILNS_9named_dimE0ELi256ELi0EEENS8_40AvoidDeviceMaxThreadOccupancyConcretizerINS8_34FractionOffsetOccupancyConcretizerINS_8FractionImLm1ELm1EEELln1EEEEELb1EEENS_9Iterators16numeric_iteratorIllPlEEZN8rajaperf5basic13REDUCE_STRUCT17runHipVariantRAJAILm256ENSN_13gpu_algorithm19block_atomic_helperENSN_11gpu_mapping40global_loop_occupancy_grid_stride_helperEEEvNSN_9VariantIDEEUllE_lNS_4expt15ForallParamPackIJEEES7_SB_TnNSt9enable_ifIXaaaasr3std10is_base_ofINS5_15StridedLoopBaseET4_EE5valuesr3std10is_base_ofINS5_15UnsizedLoopBaseES12_EE5valuegtsrT5_10block_sizeLi0EEmE4typeELm256EEEvT1_T0_T2_T3_: ; @_ZN4RAJA6policy3hip4impl18forallp_hip_kernelINS1_8hip_execINS_17iteration_mapping11StridedLoopILm0EEENS_3hip11IndexGlobalILNS_9named_dimE0ELi256ELi0EEENS8_40AvoidDeviceMaxThreadOccupancyConcretizerINS8_34FractionOffsetOccupancyConcretizerINS_8FractionImLm1ELm1EEELln1EEEEELb1EEENS_9Iterators16numeric_iteratorIllPlEEZN8rajaperf5basic13REDUCE_STRUCT17runHipVariantRAJAILm256ENSN_13gpu_algorithm19block_atomic_helperENSN_11gpu_mapping40global_loop_occupancy_grid_stride_helperEEEvNSN_9VariantIDEEUllE_lNS_4expt15ForallParamPackIJEEES7_SB_TnNSt9enable_ifIXaaaasr3std10is_base_ofINS5_15StridedLoopBaseET4_EE5valuesr3std10is_base_ofINS5_15UnsizedLoopBaseES12_EE5valuegtsrT5_10block_sizeLi0EEmE4typeELm256EEEvT1_T0_T2_T3_
; %bb.0:
	s_load_dwordx4 s[12:15], s[4:5], 0x100
	s_load_dwordx2 s[34:35], s[4:5], 0x18
	s_load_dwordx4 s[16:19], s[4:5], 0x28
	s_load_dwordx2 s[40:41], s[4:5], 0x38
	s_load_dwordx2 s[42:43], s[4:5], 0x48
	;; [unrolled: 1-line block ×5, first 2 shown]
	s_load_dwordx4 s[28:31], s[4:5], 0xa8
	s_load_dwordx2 s[50:51], s[4:5], 0xc8
	s_load_dwordx2 s[52:53], s[4:5], 0xf0
	s_mov_b32 s0, s7
	s_mov_b32 s7, 0
	s_lshl_b64 s[2:3], s[6:7], 8
	v_or_b32_e32 v5, s2, v0
	v_mov_b32_e32 v6, s3
	s_waitcnt lgkmcnt(0)
	v_cmp_gt_i64_e32 vcc, s[14:15], v[5:6]
	v_mov_b32_e32 v3, s52
	v_mov_b32_e32 v15, s50
	;; [unrolled: 1-line block ×12, first 2 shown]
	s_and_saveexec_b64 s[20:21], vcc
	s_cbranch_execz .LBB4_4
; %bb.1:
	s_load_dword s10, s[4:5], 0x118
	s_mov_b32 s11, s7
	v_mov_b32_e32 v15, s50
	v_mov_b32_e32 v13, s46
	;; [unrolled: 1-line block ×3, first 2 shown]
	s_waitcnt lgkmcnt(0)
	s_lshl_b64 s[22:23], s[10:11], 8
	s_add_u32 s1, s12, s2
	s_addc_u32 s2, s13, s3
	v_mov_b32_e32 v4, s2
	v_add_co_u32_e32 v3, vcc, s1, v0
	v_addc_co_u32_e32 v4, vcc, 0, v4, vcc
	v_lshlrev_b64 v[17:18], 3, v[3:4]
	v_mov_b32_e32 v3, s52
	v_mov_b32_e32 v9, s42
	;; [unrolled: 1-line block ×3, first 2 shown]
	s_lshl_b64 s[26:27], s[10:11], 11
	s_mov_b64 s[24:25], 0
	v_mov_b32_e32 v4, s53
	v_mov_b32_e32 v16, s51
	;; [unrolled: 1-line block ×6, first 2 shown]
.LBB4_2:                                ; =>This Inner Loop Header: Depth=1
	v_mov_b32_e32 v20, s17
	v_add_co_u32_e64 v21, s[2:3], s16, v17
	v_mov_b32_e32 v23, s29
	v_add_co_u32_e32 v19, vcc, s28, v17
	v_addc_co_u32_e64 v22, s[2:3], v20, v18, s[2:3]
	v_addc_co_u32_e32 v20, vcc, v23, v18, vcc
	global_load_dwordx2 v[23:24], v[21:22], off
	global_load_dwordx2 v[25:26], v[19:20], off
	v_mov_b32_e32 v19, s23
	v_mov_b32_e32 v20, s27
	v_add_co_u32_e32 v17, vcc, s26, v17
	v_add_co_u32_e64 v5, s[2:3], s22, v5
	v_addc_co_u32_e64 v6, s[2:3], v6, v19, s[2:3]
	v_addc_co_u32_e32 v18, vcc, v18, v20, vcc
	v_cmp_le_i64_e32 vcc, s[14:15], v[5:6]
	s_or_b64 s[24:25], vcc, s[24:25]
	s_waitcnt vmcnt(1)
	v_cmp_lt_f64_e32 vcc, v[23:24], v[9:10]
	v_cmp_lt_f64_e64 s[2:3], v[11:12], v[23:24]
	s_waitcnt vmcnt(0)
	v_cmp_lt_f64_e64 s[10:11], v[25:26], v[15:16]
	v_cmp_lt_f64_e64 s[12:13], v[3:4], v[25:26]
	v_add_f64 v[7:8], v[7:8], v[23:24]
	v_add_f64 v[13:14], v[13:14], v[25:26]
	v_cndmask_b32_e32 v10, v10, v24, vcc
	v_cndmask_b32_e64 v12, v12, v24, s[2:3]
	v_cndmask_b32_e64 v16, v16, v26, s[10:11]
	;; [unrolled: 1-line block ×3, first 2 shown]
	v_cndmask_b32_e32 v9, v9, v23, vcc
	v_cndmask_b32_e64 v11, v11, v23, s[2:3]
	v_cndmask_b32_e64 v15, v15, v25, s[10:11]
	;; [unrolled: 1-line block ×3, first 2 shown]
	s_andn2_b64 exec, exec, s[24:25]
	s_cbranch_execnz .LBB4_2
; %bb.3:
	s_or_b64 exec, exec, s[24:25]
.LBB4_4:
	s_or_b64 exec, exec, s[20:21]
	s_load_dwordx4 s[12:15], s[4:5], 0x0
	s_load_dwordx4 s[20:23], s[4:5], 0x58
	;; [unrolled: 1-line block ×4, first 2 shown]
	s_waitcnt lgkmcnt(0)
	s_cmp_lg_u64 s[36:37], 0
	s_cbranch_scc0 .LBB4_10
; %bb.5:
	s_cmp_lg_u64 s[30:31], 0
	s_cbranch_scc0 .LBB4_26
.LBB4_6:
	s_cmp_lg_u64 s[24:25], 0
	s_cbranch_scc0 .LBB4_42
.LBB4_7:
	s_cmp_lg_u64 s[20:21], 0
	s_cbranch_scc0 .LBB4_57
.LBB4_8:
	s_cmp_lg_u64 s[18:19], 0
	s_cbranch_scc0 .LBB4_73
.LBB4_9:
	s_cmp_lg_u64 s[12:13], 0
	s_cbranch_scc1 .LBB4_103
	s_branch .LBB4_89
.LBB4_10:
	s_load_dwordx2 s[10:11], s[4:5], 0x118
	s_add_u32 s1, s4, 0x118
	v_mov_b32_e32 v5, 0
	s_addc_u32 s3, s5, 0
	global_load_dword v6, v5, s[4:5] offset:294
	s_waitcnt lgkmcnt(0)
	s_cmp_lt_u32 s6, s10
	s_cselect_b32 s2, 12, 18
	s_add_u32 s2, s1, s2
	s_addc_u32 s3, s3, 0
	global_load_ushort v5, v5, s[2:3]
	v_mbcnt_lo_u32_b32 v17, -1, 0
	v_mbcnt_hi_u32_b32 v20, -1, v17
	s_waitcnt vmcnt(1)
	v_readfirstlane_b32 s1, v6
	s_lshr_b32 s2, s1, 16
	s_and_b32 s1, s1, 0xffff
	s_waitcnt vmcnt(0)
	v_readfirstlane_b32 s3, v5
	s_mul_i32 s1, s1, s3
	v_mul_lo_u32 v19, s1, v2
	v_mad_u32_u24 v6, v1, v5, v0
	s_mul_i32 s16, s1, s2
	s_ashr_i32 s17, s16, 31
	s_and_b32 s1, s16, 63
	v_add_u32_e32 v21, v19, v6
	s_cmp_eq_u32 s1, 0
	v_ashrrev_i32_e32 v5, 31, v21
	s_cbranch_scc1 .LBB4_104
; %bb.11:
	v_and_b32_e32 v24, 64, v20
	v_xor_b32_e32 v22, 1, v21
	v_and_or_b32 v17, v22, 63, v24
	v_lshlrev_b32_e32 v17, 2, v17
	ds_bpermute_b32 v23, v17, v4
	ds_bpermute_b32 v17, v17, v3
	v_xor_b32_e32 v25, 2, v21
	v_cmp_gt_i32_e64 s[2:3], s16, v22
	v_xor_b32_e32 v27, 4, v21
	s_waitcnt lgkmcnt(1)
	v_mov_b32_e32 v18, v23
	s_waitcnt lgkmcnt(0)
	v_cmp_lt_f64_e32 vcc, v[3:4], v[17:18]
	v_and_or_b32 v18, v25, 63, v24
	v_lshlrev_b32_e32 v22, 2, v18
	s_and_b64 vcc, s[2:3], vcc
	v_cndmask_b32_e32 v18, v4, v23, vcc
	v_cndmask_b32_e32 v17, v3, v17, vcc
	ds_bpermute_b32 v26, v22, v18
	ds_bpermute_b32 v22, v22, v17
	v_cmp_gt_i32_e64 s[2:3], s16, v25
	s_waitcnt lgkmcnt(1)
	v_mov_b32_e32 v23, v26
	s_waitcnt lgkmcnt(0)
	v_cmp_lt_f64_e32 vcc, v[17:18], v[22:23]
	v_and_or_b32 v23, v27, 63, v24
	v_lshlrev_b32_e32 v23, 2, v23
	s_and_b64 vcc, s[2:3], vcc
	v_cndmask_b32_e32 v18, v18, v26, vcc
	v_cndmask_b32_e32 v17, v17, v22, vcc
	ds_bpermute_b32 v25, v23, v18
	ds_bpermute_b32 v22, v23, v17
	v_xor_b32_e32 v26, 8, v21
	v_cmp_gt_i32_e64 s[2:3], s16, v27
	v_xor_b32_e32 v27, 16, v21
	s_waitcnt lgkmcnt(1)
	v_mov_b32_e32 v23, v25
	s_waitcnt lgkmcnt(0)
	v_cmp_lt_f64_e32 vcc, v[17:18], v[22:23]
	v_and_or_b32 v23, v26, 63, v24
	v_lshlrev_b32_e32 v23, 2, v23
	s_and_b64 vcc, s[2:3], vcc
	v_cndmask_b32_e32 v18, v18, v25, vcc
	v_cndmask_b32_e32 v17, v17, v22, vcc
	ds_bpermute_b32 v25, v23, v18
	ds_bpermute_b32 v22, v23, v17
	v_cmp_gt_i32_e64 s[2:3], s16, v26
	v_xor_b32_e32 v26, 32, v21
	s_waitcnt lgkmcnt(1)
	v_mov_b32_e32 v23, v25
	s_waitcnt lgkmcnt(0)
	v_cmp_lt_f64_e32 vcc, v[17:18], v[22:23]
	v_and_or_b32 v23, v27, 63, v24
	v_lshlrev_b32_e32 v23, 2, v23
	s_and_b64 vcc, s[2:3], vcc
	v_cndmask_b32_e32 v18, v18, v25, vcc
	v_cndmask_b32_e32 v17, v17, v22, vcc
	ds_bpermute_b32 v25, v23, v18
	ds_bpermute_b32 v22, v23, v17
	v_cmp_gt_i32_e64 s[2:3], s16, v27
	s_waitcnt lgkmcnt(1)
	v_mov_b32_e32 v23, v25
	s_waitcnt lgkmcnt(0)
	v_cmp_lt_f64_e32 vcc, v[17:18], v[22:23]
	v_and_or_b32 v23, v26, 63, v24
	v_lshlrev_b32_e32 v23, 2, v23
	s_and_b64 vcc, s[2:3], vcc
	v_cndmask_b32_e32 v18, v18, v25, vcc
	v_cndmask_b32_e32 v17, v17, v22, vcc
	ds_bpermute_b32 v24, v23, v18
	ds_bpermute_b32 v22, v23, v17
	v_cmp_gt_i32_e64 s[2:3], s16, v26
	s_waitcnt lgkmcnt(1)
	v_mov_b32_e32 v23, v24
	s_waitcnt lgkmcnt(0)
	v_cmp_lt_f64_e32 vcc, v[17:18], v[22:23]
	s_and_b64 vcc, s[2:3], vcc
	v_cndmask_b32_e32 v18, v18, v24, vcc
	v_cndmask_b32_e32 v17, v17, v22, vcc
	s_cbranch_execnz .LBB4_13
.LBB4_12:
	v_and_b32_e32 v17, 64, v20
	v_add_u32_e32 v22, 64, v17
	v_xor_b32_e32 v17, 1, v20
	v_cmp_lt_i32_e32 vcc, v17, v22
	v_cndmask_b32_e32 v17, v20, v17, vcc
	v_lshlrev_b32_e32 v17, 2, v17
	ds_bpermute_b32 v23, v17, v4
	ds_bpermute_b32 v17, v17, v3
	s_waitcnt lgkmcnt(1)
	v_mov_b32_e32 v18, v23
	s_waitcnt lgkmcnt(0)
	v_cmp_lt_f64_e32 vcc, v[3:4], v[17:18]
	v_xor_b32_e32 v18, 2, v20
	v_cmp_lt_i32_e64 s[2:3], v18, v22
	v_cndmask_b32_e64 v18, v20, v18, s[2:3]
	v_lshlrev_b32_e32 v18, 2, v18
	v_cndmask_b32_e32 v4, v4, v23, vcc
	ds_bpermute_b32 v23, v18, v4
	v_cndmask_b32_e32 v3, v3, v17, vcc
	ds_bpermute_b32 v17, v18, v3
	s_waitcnt lgkmcnt(1)
	v_mov_b32_e32 v18, v23
	s_waitcnt lgkmcnt(0)
	v_cmp_lt_f64_e32 vcc, v[3:4], v[17:18]
	v_xor_b32_e32 v18, 4, v20
	v_cmp_lt_i32_e64 s[2:3], v18, v22
	v_cndmask_b32_e64 v18, v20, v18, s[2:3]
	v_lshlrev_b32_e32 v18, 2, v18
	v_cndmask_b32_e32 v4, v4, v23, vcc
	ds_bpermute_b32 v23, v18, v4
	v_cndmask_b32_e32 v3, v3, v17, vcc
	;; [unrolled: 12-line block ×4, first 2 shown]
	ds_bpermute_b32 v17, v18, v3
	s_waitcnt lgkmcnt(1)
	v_mov_b32_e32 v18, v23
	s_waitcnt lgkmcnt(0)
	v_cmp_lt_f64_e32 vcc, v[3:4], v[17:18]
	v_xor_b32_e32 v18, 32, v20
	v_cmp_lt_i32_e64 s[2:3], v18, v22
	v_cndmask_b32_e64 v18, v20, v18, s[2:3]
	v_lshlrev_b32_e32 v18, 2, v18
	v_cndmask_b32_e32 v4, v4, v23, vcc
	v_cndmask_b32_e32 v3, v3, v17, vcc
	ds_bpermute_b32 v22, v18, v4
	ds_bpermute_b32 v17, v18, v3
	s_waitcnt lgkmcnt(1)
	v_mov_b32_e32 v18, v22
	s_waitcnt lgkmcnt(0)
	v_cmp_lt_f64_e32 vcc, v[3:4], v[17:18]
	v_cndmask_b32_e32 v18, v4, v22, vcc
	v_cndmask_b32_e32 v17, v3, v17, vcc
.LBB4_13:
	s_cmpk_lt_i32 s16, 0x41
	s_cbranch_scc1 .LBB4_21
; %bb.14:
	v_lshrrev_b32_e32 v3, 26, v5
	v_add_u32_e32 v4, v21, v3
	v_and_b32_e32 v3, 0xffffffc0, v4
	v_sub_u32_e32 v3, v21, v3
	v_cmp_eq_u32_e32 vcc, 0, v3
	s_and_saveexec_b64 s[2:3], vcc
; %bb.15:
	v_ashrrev_i32_e32 v4, 6, v4
	v_lshlrev_b32_e32 v4, 3, v4
	ds_write_b64 v4, v[17:18]
; %bb.16:
	s_or_b64 exec, exec, s[2:3]
	v_add_co_u32_e32 v4, vcc, 63, v21
	v_addc_co_u32_e32 v5, vcc, 0, v5, vcc
	s_mov_b64 s[2:3], 0x7f
	v_cmp_gt_u64_e32 vcc, s[2:3], v[4:5]
	s_waitcnt lgkmcnt(0)
	s_barrier
	s_and_saveexec_b64 s[28:29], vcc
	s_cbranch_execz .LBB4_20
; %bb.17:
	v_ashrrev_i32_e32 v4, 31, v3
	v_lshlrev_b64 v[4:5], 6, v[3:4]
	v_cmp_gt_i64_e32 vcc, s[16:17], v[4:5]
	v_mov_b32_e32 v4, s52
	v_mov_b32_e32 v5, s53
	s_and_saveexec_b64 s[2:3], vcc
; %bb.18:
	v_lshlrev_b32_e32 v3, 3, v3
	ds_read_b64 v[4:5], v3
; %bb.19:
	s_or_b64 exec, exec, s[2:3]
	v_and_b32_e32 v3, 64, v20
	v_add_u32_e32 v3, 64, v3
	v_xor_b32_e32 v17, 1, v20
	v_cmp_lt_i32_e32 vcc, v17, v3
	v_cndmask_b32_e32 v17, v20, v17, vcc
	v_lshlrev_b32_e32 v17, 2, v17
	s_waitcnt lgkmcnt(0)
	ds_bpermute_b32 v21, v17, v5
	ds_bpermute_b32 v17, v17, v4
	s_waitcnt lgkmcnt(1)
	v_mov_b32_e32 v18, v21
	s_waitcnt lgkmcnt(0)
	v_cmp_lt_f64_e32 vcc, v[4:5], v[17:18]
	v_xor_b32_e32 v18, 2, v20
	v_cmp_lt_i32_e64 s[2:3], v18, v3
	v_cndmask_b32_e64 v18, v20, v18, s[2:3]
	v_lshlrev_b32_e32 v18, 2, v18
	v_cndmask_b32_e32 v5, v5, v21, vcc
	ds_bpermute_b32 v21, v18, v5
	v_cndmask_b32_e32 v4, v4, v17, vcc
	ds_bpermute_b32 v17, v18, v4
	s_waitcnt lgkmcnt(1)
	v_mov_b32_e32 v18, v21
	s_waitcnt lgkmcnt(0)
	v_cmp_lt_f64_e32 vcc, v[4:5], v[17:18]
	v_xor_b32_e32 v18, 4, v20
	v_cmp_lt_i32_e64 s[2:3], v18, v3
	v_cndmask_b32_e64 v18, v20, v18, s[2:3]
	v_lshlrev_b32_e32 v18, 2, v18
	v_cndmask_b32_e32 v5, v5, v21, vcc
	ds_bpermute_b32 v21, v18, v5
	v_cndmask_b32_e32 v4, v4, v17, vcc
	ds_bpermute_b32 v17, v18, v4
	s_waitcnt lgkmcnt(1)
	v_mov_b32_e32 v18, v21
	s_waitcnt lgkmcnt(0)
	v_cmp_lt_f64_e32 vcc, v[4:5], v[17:18]
	v_xor_b32_e32 v18, 8, v20
	v_cmp_lt_i32_e64 s[2:3], v18, v3
	v_cndmask_b32_e64 v3, v20, v18, s[2:3]
	v_lshlrev_b32_e32 v3, 2, v3
	v_cndmask_b32_e32 v5, v5, v21, vcc
	v_cndmask_b32_e32 v4, v4, v17, vcc
	ds_bpermute_b32 v20, v3, v5
	ds_bpermute_b32 v17, v3, v4
	s_waitcnt lgkmcnt(1)
	v_mov_b32_e32 v18, v20
	s_waitcnt lgkmcnt(0)
	v_cmp_lt_f64_e32 vcc, v[4:5], v[17:18]
	v_cndmask_b32_e32 v18, v5, v20, vcc
	v_cndmask_b32_e32 v17, v4, v17, vcc
.LBB4_20:
	s_or_b64 exec, exec, s[28:29]
	s_barrier
.LBB4_21:
	v_cmp_neq_f64_e32 vcc, s[52:53], v[17:18]
	v_sub_u32_e32 v3, 0, v19
	v_cmp_eq_u32_e64 s[2:3], v6, v3
	s_and_b64 s[2:3], s[2:3], vcc
	s_and_saveexec_b64 s[16:17], s[2:3]
	s_cbranch_execz .LBB4_25
; %bb.22:
	s_mul_i32 s1, s11, s8
	s_add_i32 s1, s1, s0
	s_mul_i32 s1, s1, s10
	s_add_i32 s1, s1, s6
	s_ashr_i32 s2, s1, 31
	s_lshr_b32 s2, s2, 27
	s_add_i32 s2, s1, s2
	s_and_b32 s2, s2, 0x1fffffe0
	s_sub_i32 s1, s1, s2
	s_lshl_b32 s2, s1, 3
	s_ashr_i32 s3, s2, 31
	s_lshl_b64 s[2:3], s[2:3], 3
	s_add_u32 s2, s38, s2
	s_addc_u32 s3, s39, s3
	v_mov_b32_e32 v4, s3
	v_mov_b32_e32 v3, s2
	flat_load_dwordx2 v[5:6], v[3:4] glc
	s_waitcnt vmcnt(0) lgkmcnt(0)
	v_cmp_nle_f64_e32 vcc, v[17:18], v[5:6]
	s_and_b64 exec, exec, vcc
	s_cbranch_execz .LBB4_25
; %bb.23:
	v_mov_b32_e32 v20, s3
	s_mov_b64 s[10:11], 0
	v_mov_b32_e32 v19, s2
.LBB4_24:                               ; =>This Inner Loop Header: Depth=1
	v_cmp_lt_f64_e32 vcc, v[5:6], v[17:18]
	v_cndmask_b32_e32 v4, v6, v18, vcc
	v_cndmask_b32_e32 v3, v5, v17, vcc
	flat_atomic_cmpswap_x2 v[3:4], v[19:20], v[3:6] glc
	s_waitcnt vmcnt(0) lgkmcnt(0)
	v_cmp_le_f64_e32 vcc, v[17:18], v[3:4]
	v_cmp_eq_u64_e64 s[2:3], v[3:4], v[5:6]
	v_mov_b32_e32 v6, v4
	v_mov_b32_e32 v5, v3
	s_or_b64 s[2:3], s[2:3], vcc
	s_and_b64 s[2:3], exec, s[2:3]
	s_or_b64 s[10:11], s[2:3], s[10:11]
	s_andn2_b64 exec, exec, s[10:11]
	s_cbranch_execnz .LBB4_24
.LBB4_25:
	s_or_b64 exec, exec, s[16:17]
	s_cmp_lg_u64 s[30:31], 0
	s_cbranch_scc1 .LBB4_6
.LBB4_26:
	s_load_dwordx2 s[10:11], s[4:5], 0x118
	s_add_u32 s1, s4, 0x118
	v_mov_b32_e32 v3, 0
	s_addc_u32 s3, s5, 0
	global_load_dword v4, v3, s[4:5] offset:294
	s_waitcnt lgkmcnt(0)
	s_cmp_lt_u32 s6, s10
	s_cselect_b32 s2, 12, 18
	s_add_u32 s2, s1, s2
	s_addc_u32 s3, s3, 0
	global_load_ushort v3, v3, s[2:3]
	v_mbcnt_lo_u32_b32 v17, -1, 0
	v_mbcnt_hi_u32_b32 v20, -1, v17
	s_waitcnt vmcnt(1)
	v_readfirstlane_b32 s1, v4
	s_lshr_b32 s2, s1, 16
	s_and_b32 s1, s1, 0xffff
	s_waitcnt vmcnt(0)
	v_readfirstlane_b32 s3, v3
	s_mul_i32 s1, s1, s3
	v_mul_lo_u32 v19, s1, v2
	v_mad_u32_u24 v6, v1, v3, v0
	s_mul_i32 s16, s1, s2
	s_ashr_i32 s17, s16, 31
	s_and_b32 s1, s16, 63
	v_add_u32_e32 v5, v19, v6
	s_cmp_eq_u32 s1, 0
	v_ashrrev_i32_e32 v4, 31, v5
	s_cbranch_scc1 .LBB4_105
; %bb.27:
	v_and_b32_e32 v3, 64, v20
	v_xor_b32_e32 v21, 1, v5
	v_and_or_b32 v17, v21, 63, v3
	v_lshlrev_b32_e32 v17, 2, v17
	ds_bpermute_b32 v22, v17, v16
	ds_bpermute_b32 v17, v17, v15
	v_xor_b32_e32 v23, 2, v5
	v_cmp_gt_i32_e64 s[2:3], s16, v21
	v_xor_b32_e32 v25, 4, v5
	s_waitcnt lgkmcnt(1)
	v_mov_b32_e32 v18, v22
	s_waitcnt lgkmcnt(0)
	v_cmp_gt_f64_e32 vcc, v[15:16], v[17:18]
	v_and_or_b32 v18, v23, 63, v3
	v_lshlrev_b32_e32 v21, 2, v18
	s_and_b64 vcc, s[2:3], vcc
	v_cndmask_b32_e32 v18, v16, v22, vcc
	v_cndmask_b32_e32 v17, v15, v17, vcc
	ds_bpermute_b32 v24, v21, v18
	ds_bpermute_b32 v21, v21, v17
	v_cmp_gt_i32_e64 s[2:3], s16, v23
	s_waitcnt lgkmcnt(1)
	v_mov_b32_e32 v22, v24
	s_waitcnt lgkmcnt(0)
	v_cmp_gt_f64_e32 vcc, v[17:18], v[21:22]
	v_and_or_b32 v22, v25, 63, v3
	v_lshlrev_b32_e32 v22, 2, v22
	s_and_b64 vcc, s[2:3], vcc
	v_cndmask_b32_e32 v18, v18, v24, vcc
	v_cndmask_b32_e32 v17, v17, v21, vcc
	ds_bpermute_b32 v23, v22, v18
	ds_bpermute_b32 v21, v22, v17
	v_xor_b32_e32 v24, 8, v5
	v_cmp_gt_i32_e64 s[2:3], s16, v25
	v_xor_b32_e32 v25, 16, v5
	s_waitcnt lgkmcnt(1)
	v_mov_b32_e32 v22, v23
	s_waitcnt lgkmcnt(0)
	v_cmp_gt_f64_e32 vcc, v[17:18], v[21:22]
	v_and_or_b32 v22, v24, 63, v3
	v_lshlrev_b32_e32 v22, 2, v22
	s_and_b64 vcc, s[2:3], vcc
	v_cndmask_b32_e32 v18, v18, v23, vcc
	v_cndmask_b32_e32 v17, v17, v21, vcc
	ds_bpermute_b32 v23, v22, v18
	ds_bpermute_b32 v21, v22, v17
	v_cmp_gt_i32_e64 s[2:3], s16, v24
	v_xor_b32_e32 v24, 32, v5
	s_waitcnt lgkmcnt(1)
	v_mov_b32_e32 v22, v23
	s_waitcnt lgkmcnt(0)
	v_cmp_gt_f64_e32 vcc, v[17:18], v[21:22]
	v_and_or_b32 v22, v25, 63, v3
	v_lshlrev_b32_e32 v22, 2, v22
	v_and_or_b32 v3, v24, 63, v3
	v_lshlrev_b32_e32 v3, 2, v3
	s_and_b64 vcc, s[2:3], vcc
	v_cndmask_b32_e32 v18, v18, v23, vcc
	v_cndmask_b32_e32 v17, v17, v21, vcc
	ds_bpermute_b32 v23, v22, v18
	ds_bpermute_b32 v21, v22, v17
	v_cmp_gt_i32_e64 s[2:3], s16, v25
	s_waitcnt lgkmcnt(1)
	v_mov_b32_e32 v22, v23
	s_waitcnt lgkmcnt(0)
	v_cmp_gt_f64_e32 vcc, v[17:18], v[21:22]
	s_and_b64 vcc, s[2:3], vcc
	v_cndmask_b32_e32 v18, v18, v23, vcc
	v_cndmask_b32_e32 v17, v17, v21, vcc
	ds_bpermute_b32 v23, v3, v18
	ds_bpermute_b32 v21, v3, v17
	v_cmp_gt_i32_e64 s[2:3], s16, v24
	s_waitcnt lgkmcnt(1)
	v_mov_b32_e32 v22, v23
	s_waitcnt lgkmcnt(0)
	v_cmp_gt_f64_e32 vcc, v[17:18], v[21:22]
	s_and_b64 vcc, s[2:3], vcc
	v_cndmask_b32_e32 v18, v18, v23, vcc
	v_cndmask_b32_e32 v17, v17, v21, vcc
	s_cbranch_execnz .LBB4_29
.LBB4_28:
	v_and_b32_e32 v3, 64, v20
	v_add_u32_e32 v3, 64, v3
	v_xor_b32_e32 v17, 1, v20
	v_cmp_lt_i32_e32 vcc, v17, v3
	v_cndmask_b32_e32 v17, v20, v17, vcc
	v_lshlrev_b32_e32 v17, 2, v17
	ds_bpermute_b32 v21, v17, v16
	ds_bpermute_b32 v17, v17, v15
	s_waitcnt lgkmcnt(1)
	v_mov_b32_e32 v18, v21
	s_waitcnt lgkmcnt(0)
	v_cmp_gt_f64_e32 vcc, v[15:16], v[17:18]
	v_xor_b32_e32 v18, 2, v20
	v_cmp_lt_i32_e64 s[2:3], v18, v3
	v_cndmask_b32_e64 v18, v20, v18, s[2:3]
	v_lshlrev_b32_e32 v18, 2, v18
	v_cndmask_b32_e32 v16, v16, v21, vcc
	ds_bpermute_b32 v21, v18, v16
	v_cndmask_b32_e32 v15, v15, v17, vcc
	ds_bpermute_b32 v17, v18, v15
	s_waitcnt lgkmcnt(1)
	v_mov_b32_e32 v18, v21
	s_waitcnt lgkmcnt(0)
	v_cmp_gt_f64_e32 vcc, v[15:16], v[17:18]
	v_xor_b32_e32 v18, 4, v20
	v_cmp_lt_i32_e64 s[2:3], v18, v3
	v_cndmask_b32_e64 v18, v20, v18, s[2:3]
	v_lshlrev_b32_e32 v18, 2, v18
	v_cndmask_b32_e32 v16, v16, v21, vcc
	ds_bpermute_b32 v21, v18, v16
	v_cndmask_b32_e32 v15, v15, v17, vcc
	;; [unrolled: 12-line block ×4, first 2 shown]
	ds_bpermute_b32 v17, v18, v15
	s_waitcnt lgkmcnt(1)
	v_mov_b32_e32 v18, v21
	s_waitcnt lgkmcnt(0)
	v_cmp_gt_f64_e32 vcc, v[15:16], v[17:18]
	v_xor_b32_e32 v18, 32, v20
	v_cmp_lt_i32_e64 s[2:3], v18, v3
	v_cndmask_b32_e64 v3, v20, v18, s[2:3]
	v_lshlrev_b32_e32 v3, 2, v3
	v_cndmask_b32_e32 v16, v16, v21, vcc
	v_cndmask_b32_e32 v15, v15, v17, vcc
	ds_bpermute_b32 v21, v3, v16
	ds_bpermute_b32 v17, v3, v15
	s_waitcnt lgkmcnt(1)
	v_mov_b32_e32 v18, v21
	s_waitcnt lgkmcnt(0)
	v_cmp_gt_f64_e32 vcc, v[15:16], v[17:18]
	v_cndmask_b32_e32 v18, v16, v21, vcc
	v_cndmask_b32_e32 v17, v15, v17, vcc
.LBB4_29:
	s_cmpk_lt_i32 s16, 0x41
	s_cbranch_scc1 .LBB4_37
; %bb.30:
	v_lshrrev_b32_e32 v3, 26, v4
	v_add_u32_e32 v15, v5, v3
	v_and_b32_e32 v3, 0xffffffc0, v15
	v_sub_u32_e32 v3, v5, v3
	v_cmp_eq_u32_e32 vcc, 0, v3
	s_and_saveexec_b64 s[2:3], vcc
; %bb.31:
	v_ashrrev_i32_e32 v15, 6, v15
	v_lshlrev_b32_e32 v15, 3, v15
	ds_write_b64 v15, v[17:18] offset:128
; %bb.32:
	s_or_b64 exec, exec, s[2:3]
	v_add_co_u32_e32 v15, vcc, 63, v5
	v_addc_co_u32_e32 v16, vcc, 0, v4, vcc
	s_mov_b64 s[2:3], 0x7f
	v_cmp_gt_u64_e32 vcc, s[2:3], v[15:16]
	s_waitcnt lgkmcnt(0)
	s_barrier
	s_and_saveexec_b64 s[28:29], vcc
	s_cbranch_execz .LBB4_36
; %bb.33:
	v_ashrrev_i32_e32 v4, 31, v3
	v_lshlrev_b64 v[4:5], 6, v[3:4]
	v_cmp_gt_i64_e32 vcc, s[16:17], v[4:5]
	v_mov_b32_e32 v4, s50
	v_mov_b32_e32 v5, s51
	s_and_saveexec_b64 s[2:3], vcc
; %bb.34:
	v_lshlrev_b32_e32 v3, 3, v3
	ds_read_b64 v[4:5], v3 offset:128
; %bb.35:
	s_or_b64 exec, exec, s[2:3]
	v_and_b32_e32 v3, 64, v20
	v_add_u32_e32 v3, 64, v3
	v_xor_b32_e32 v15, 1, v20
	v_cmp_lt_i32_e32 vcc, v15, v3
	v_cndmask_b32_e32 v15, v20, v15, vcc
	v_lshlrev_b32_e32 v15, 2, v15
	s_waitcnt lgkmcnt(0)
	ds_bpermute_b32 v17, v15, v5
	ds_bpermute_b32 v15, v15, v4
	s_waitcnt lgkmcnt(1)
	v_mov_b32_e32 v16, v17
	s_waitcnt lgkmcnt(0)
	v_cmp_gt_f64_e32 vcc, v[4:5], v[15:16]
	v_xor_b32_e32 v16, 2, v20
	v_cmp_lt_i32_e64 s[2:3], v16, v3
	v_cndmask_b32_e64 v16, v20, v16, s[2:3]
	v_lshlrev_b32_e32 v16, 2, v16
	v_cndmask_b32_e32 v5, v5, v17, vcc
	ds_bpermute_b32 v17, v16, v5
	v_cndmask_b32_e32 v4, v4, v15, vcc
	ds_bpermute_b32 v15, v16, v4
	s_waitcnt lgkmcnt(1)
	v_mov_b32_e32 v16, v17
	s_waitcnt lgkmcnt(0)
	v_cmp_gt_f64_e32 vcc, v[4:5], v[15:16]
	v_xor_b32_e32 v16, 4, v20
	v_cmp_lt_i32_e64 s[2:3], v16, v3
	v_cndmask_b32_e64 v16, v20, v16, s[2:3]
	v_lshlrev_b32_e32 v16, 2, v16
	v_cndmask_b32_e32 v5, v5, v17, vcc
	ds_bpermute_b32 v17, v16, v5
	v_cndmask_b32_e32 v4, v4, v15, vcc
	ds_bpermute_b32 v15, v16, v4
	s_waitcnt lgkmcnt(1)
	v_mov_b32_e32 v16, v17
	s_waitcnt lgkmcnt(0)
	v_cmp_gt_f64_e32 vcc, v[4:5], v[15:16]
	v_xor_b32_e32 v16, 8, v20
	v_cmp_lt_i32_e64 s[2:3], v16, v3
	v_cndmask_b32_e64 v3, v20, v16, s[2:3]
	v_lshlrev_b32_e32 v3, 2, v3
	v_cndmask_b32_e32 v5, v5, v17, vcc
	v_cndmask_b32_e32 v4, v4, v15, vcc
	ds_bpermute_b32 v17, v3, v5
	ds_bpermute_b32 v15, v3, v4
	s_waitcnt lgkmcnt(1)
	v_mov_b32_e32 v16, v17
	s_waitcnt lgkmcnt(0)
	v_cmp_gt_f64_e32 vcc, v[4:5], v[15:16]
	v_cndmask_b32_e32 v18, v5, v17, vcc
	v_cndmask_b32_e32 v17, v4, v15, vcc
.LBB4_36:
	s_or_b64 exec, exec, s[28:29]
	s_barrier
.LBB4_37:
	v_cmp_neq_f64_e32 vcc, s[50:51], v[17:18]
	v_sub_u32_e32 v3, 0, v19
	v_cmp_eq_u32_e64 s[2:3], v6, v3
	s_and_b64 s[2:3], s[2:3], vcc
	s_and_saveexec_b64 s[16:17], s[2:3]
	s_cbranch_execz .LBB4_41
; %bb.38:
	s_mul_i32 s1, s11, s8
	s_add_i32 s1, s1, s0
	s_mul_i32 s1, s1, s10
	s_add_i32 s1, s1, s6
	s_ashr_i32 s2, s1, 31
	s_lshr_b32 s2, s2, 27
	s_add_i32 s2, s1, s2
	s_and_b32 s2, s2, 0x1fffffe0
	s_sub_i32 s1, s1, s2
	s_lshl_b32 s2, s1, 3
	s_ashr_i32 s3, s2, 31
	s_lshl_b64 s[2:3], s[2:3], 3
	s_add_u32 s2, s48, s2
	s_addc_u32 s3, s49, s3
	v_mov_b32_e32 v4, s3
	v_mov_b32_e32 v3, s2
	flat_load_dwordx2 v[5:6], v[3:4] glc
	s_waitcnt vmcnt(0) lgkmcnt(0)
	v_cmp_nge_f64_e32 vcc, v[17:18], v[5:6]
	s_and_b64 exec, exec, vcc
	s_cbranch_execz .LBB4_41
; %bb.39:
	v_mov_b32_e32 v16, s3
	s_mov_b64 s[10:11], 0
	v_mov_b32_e32 v15, s2
.LBB4_40:                               ; =>This Inner Loop Header: Depth=1
	v_cmp_lt_f64_e32 vcc, v[17:18], v[5:6]
	v_cndmask_b32_e32 v4, v6, v18, vcc
	v_cndmask_b32_e32 v3, v5, v17, vcc
	flat_atomic_cmpswap_x2 v[3:4], v[15:16], v[3:6] glc
	s_waitcnt vmcnt(0) lgkmcnt(0)
	v_cmp_ge_f64_e32 vcc, v[17:18], v[3:4]
	v_cmp_eq_u64_e64 s[2:3], v[3:4], v[5:6]
	v_mov_b32_e32 v6, v4
	v_mov_b32_e32 v5, v3
	s_or_b64 s[2:3], s[2:3], vcc
	s_and_b64 s[2:3], exec, s[2:3]
	s_or_b64 s[10:11], s[2:3], s[10:11]
	s_andn2_b64 exec, exec, s[10:11]
	s_cbranch_execnz .LBB4_40
.LBB4_41:
	s_or_b64 exec, exec, s[16:17]
	s_cmp_lg_u64 s[24:25], 0
	s_cbranch_scc1 .LBB4_7
.LBB4_42:
	s_load_dwordx2 s[10:11], s[4:5], 0x118
	s_add_u32 s1, s4, 0x118
	v_mov_b32_e32 v3, 0
	s_addc_u32 s3, s5, 0
	global_load_dword v4, v3, s[4:5] offset:294
	s_waitcnt lgkmcnt(0)
	s_cmp_lt_u32 s6, s10
	s_cselect_b32 s2, 12, 18
	s_add_u32 s2, s1, s2
	s_addc_u32 s3, s3, 0
	global_load_ushort v3, v3, s[2:3]
	v_mbcnt_lo_u32_b32 v15, -1, 0
	v_mbcnt_hi_u32_b32 v18, -1, v15
	s_waitcnt vmcnt(1)
	v_readfirstlane_b32 s1, v4
	s_lshr_b32 s2, s1, 16
	s_and_b32 s1, s1, 0xffff
	s_waitcnt vmcnt(0)
	v_readfirstlane_b32 s3, v3
	s_mul_i32 s1, s1, s3
	v_mul_lo_u32 v17, s1, v2
	v_mad_u32_u24 v6, v1, v3, v0
	s_mul_i32 s2, s1, s2
	s_ashr_i32 s3, s2, 31
	s_and_b32 s1, s2, 63
	v_add_u32_e32 v5, v17, v6
	s_cmp_eq_u32 s1, 0
	v_ashrrev_i32_e32 v4, 31, v5
	s_cbranch_scc1 .LBB4_106
; %bb.43:
	v_and_b32_e32 v3, 64, v18
	v_xor_b32_e32 v19, 1, v5
	v_and_or_b32 v15, v19, 63, v3
	v_lshlrev_b32_e32 v16, 2, v15
	ds_bpermute_b32 v15, v16, v13
	ds_bpermute_b32 v16, v16, v14
	v_xor_b32_e32 v21, 2, v5
	v_and_or_b32 v20, v21, 63, v3
	v_cmp_gt_i32_e32 vcc, s2, v19
	v_lshlrev_b32_e32 v20, 2, v20
	s_waitcnt lgkmcnt(0)
	v_add_f64 v[15:16], v[13:14], v[15:16]
	v_xor_b32_e32 v22, 4, v5
	v_and_or_b32 v23, v22, 63, v3
	v_lshlrev_b32_e32 v23, 2, v23
	v_cndmask_b32_e32 v16, v14, v16, vcc
	v_cndmask_b32_e32 v15, v13, v15, vcc
	ds_bpermute_b32 v19, v20, v15
	ds_bpermute_b32 v20, v20, v16
	v_cmp_gt_i32_e32 vcc, s2, v21
	v_xor_b32_e32 v21, 8, v5
	s_waitcnt lgkmcnt(0)
	v_add_f64 v[19:20], v[15:16], v[19:20]
	v_cndmask_b32_e32 v16, v16, v20, vcc
	v_cndmask_b32_e32 v15, v15, v19, vcc
	ds_bpermute_b32 v19, v23, v15
	ds_bpermute_b32 v20, v23, v16
	v_and_or_b32 v23, v21, 63, v3
	v_cmp_gt_i32_e32 vcc, s2, v22
	v_lshlrev_b32_e32 v23, 2, v23
	v_xor_b32_e32 v22, 16, v5
	s_waitcnt lgkmcnt(0)
	v_add_f64 v[19:20], v[15:16], v[19:20]
	v_cndmask_b32_e32 v16, v16, v20, vcc
	v_cndmask_b32_e32 v15, v15, v19, vcc
	ds_bpermute_b32 v19, v23, v15
	ds_bpermute_b32 v20, v23, v16
	v_and_or_b32 v23, v22, 63, v3
	v_cmp_gt_i32_e32 vcc, s2, v21
	v_lshlrev_b32_e32 v23, 2, v23
	v_xor_b32_e32 v21, 32, v5
	s_waitcnt lgkmcnt(0)
	v_add_f64 v[19:20], v[15:16], v[19:20]
	v_and_or_b32 v3, v21, 63, v3
	v_lshlrev_b32_e32 v3, 2, v3
	v_cndmask_b32_e32 v16, v16, v20, vcc
	v_cndmask_b32_e32 v15, v15, v19, vcc
	ds_bpermute_b32 v19, v23, v15
	ds_bpermute_b32 v20, v23, v16
	v_cmp_gt_i32_e32 vcc, s2, v22
	s_waitcnt lgkmcnt(0)
	v_add_f64 v[19:20], v[15:16], v[19:20]
	v_cndmask_b32_e32 v16, v16, v20, vcc
	v_cndmask_b32_e32 v15, v15, v19, vcc
	ds_bpermute_b32 v19, v3, v15
	ds_bpermute_b32 v20, v3, v16
	v_cmp_gt_i32_e32 vcc, s2, v21
	s_waitcnt lgkmcnt(0)
	v_add_f64 v[19:20], v[15:16], v[19:20]
	v_cndmask_b32_e32 v16, v16, v20, vcc
	v_cndmask_b32_e32 v15, v15, v19, vcc
	s_cbranch_execnz .LBB4_45
.LBB4_44:
	v_and_b32_e32 v3, 64, v18
	v_add_u32_e32 v3, 64, v3
	v_xor_b32_e32 v15, 1, v18
	v_cmp_lt_i32_e32 vcc, v15, v3
	v_cndmask_b32_e32 v15, v18, v15, vcc
	v_lshlrev_b32_e32 v16, 2, v15
	ds_bpermute_b32 v15, v16, v13
	ds_bpermute_b32 v16, v16, v14
	s_waitcnt lgkmcnt(0)
	v_add_f64 v[13:14], v[13:14], v[15:16]
	v_xor_b32_e32 v15, 2, v18
	v_cmp_lt_i32_e32 vcc, v15, v3
	v_cndmask_b32_e32 v15, v18, v15, vcc
	v_lshlrev_b32_e32 v16, 2, v15
	ds_bpermute_b32 v15, v16, v13
	ds_bpermute_b32 v16, v16, v14
	s_waitcnt lgkmcnt(0)
	v_add_f64 v[13:14], v[13:14], v[15:16]
	;; [unrolled: 8-line block ×6, first 2 shown]
.LBB4_45:
	s_cmpk_lt_i32 s2, 0x41
	s_cbranch_scc1 .LBB4_53
; %bb.46:
	v_lshrrev_b32_e32 v3, 26, v4
	v_add_u32_e32 v13, v5, v3
	v_and_b32_e32 v3, 0xffffffc0, v13
	v_sub_u32_e32 v3, v5, v3
	v_cmp_eq_u32_e32 vcc, 0, v3
	s_and_saveexec_b64 s[16:17], vcc
; %bb.47:
	v_ashrrev_i32_e32 v13, 6, v13
	v_lshlrev_b32_e32 v13, 3, v13
	ds_write_b64 v13, v[15:16] offset:256
; %bb.48:
	s_or_b64 exec, exec, s[16:17]
	v_add_co_u32_e32 v13, vcc, 63, v5
	v_addc_co_u32_e32 v14, vcc, 0, v4, vcc
	s_mov_b64 s[16:17], 0x7f
	v_cmp_gt_u64_e32 vcc, s[16:17], v[13:14]
	s_waitcnt lgkmcnt(0)
	s_barrier
	s_and_saveexec_b64 s[16:17], vcc
	s_cbranch_execz .LBB4_52
; %bb.49:
	v_ashrrev_i32_e32 v4, 31, v3
	v_lshlrev_b64 v[4:5], 6, v[3:4]
	v_cmp_gt_i64_e32 vcc, s[2:3], v[4:5]
	v_mov_b32_e32 v4, s46
	v_mov_b32_e32 v5, s47
	s_and_saveexec_b64 s[2:3], vcc
; %bb.50:
	v_lshlrev_b32_e32 v3, 3, v3
	ds_read_b64 v[4:5], v3 offset:256
; %bb.51:
	s_or_b64 exec, exec, s[2:3]
	v_and_b32_e32 v3, 64, v18
	v_add_u32_e32 v15, 64, v3
	v_xor_b32_e32 v3, 1, v18
	v_cmp_lt_i32_e32 vcc, v3, v15
	v_cndmask_b32_e32 v3, v18, v3, vcc
	v_lshlrev_b32_e32 v3, 2, v3
	s_waitcnt lgkmcnt(0)
	ds_bpermute_b32 v13, v3, v4
	ds_bpermute_b32 v14, v3, v5
	s_waitcnt lgkmcnt(0)
	v_add_f64 v[3:4], v[4:5], v[13:14]
	v_xor_b32_e32 v5, 2, v18
	v_cmp_lt_i32_e32 vcc, v5, v15
	v_cndmask_b32_e32 v5, v18, v5, vcc
	v_lshlrev_b32_e32 v5, 2, v5
	ds_bpermute_b32 v13, v5, v3
	ds_bpermute_b32 v14, v5, v4
	v_xor_b32_e32 v5, 4, v18
	v_cmp_lt_i32_e32 vcc, v5, v15
	v_cndmask_b32_e32 v5, v18, v5, vcc
	v_lshlrev_b32_e32 v5, 2, v5
	s_waitcnt lgkmcnt(0)
	v_add_f64 v[3:4], v[3:4], v[13:14]
	ds_bpermute_b32 v13, v5, v3
	ds_bpermute_b32 v14, v5, v4
	v_xor_b32_e32 v5, 8, v18
	v_cmp_lt_i32_e32 vcc, v5, v15
	v_cndmask_b32_e32 v5, v18, v5, vcc
	v_lshlrev_b32_e32 v5, 2, v5
	s_waitcnt lgkmcnt(0)
	v_add_f64 v[3:4], v[3:4], v[13:14]
	ds_bpermute_b32 v13, v5, v3
	ds_bpermute_b32 v14, v5, v4
	s_waitcnt lgkmcnt(0)
	v_add_f64 v[15:16], v[3:4], v[13:14]
.LBB4_52:
	s_or_b64 exec, exec, s[16:17]
	s_barrier
.LBB4_53:
	v_cmp_neq_f64_e32 vcc, s[46:47], v[15:16]
	v_sub_u32_e32 v3, 0, v17
	v_cmp_eq_u32_e64 s[2:3], v6, v3
	s_and_b64 s[16:17], s[2:3], vcc
	s_and_saveexec_b64 s[2:3], s[16:17]
	s_cbranch_execz .LBB4_56
; %bb.54:
	s_mul_i32 s1, s11, s8
	s_add_i32 s1, s1, s0
	s_mul_i32 s1, s1, s10
	s_add_i32 s1, s1, s6
	s_ashr_i32 s7, s1, 31
	s_lshr_b32 s7, s7, 27
	s_add_i32 s7, s1, s7
	s_and_b32 s7, s7, 0x1fffffe0
	s_sub_i32 s1, s1, s7
	s_lshl_b32 s10, s1, 3
	s_ashr_i32 s11, s10, 31
	s_lshl_b64 s[10:11], s[10:11], 3
	s_add_u32 s10, s26, s10
	s_addc_u32 s11, s27, s11
	v_mov_b32_e32 v14, s11
	v_mov_b32_e32 v13, s10
	flat_load_dwordx2 v[5:6], v[13:14]
	s_mov_b64 s[10:11], 0
.LBB4_55:                               ; =>This Inner Loop Header: Depth=1
	s_waitcnt vmcnt(0) lgkmcnt(0)
	v_add_f64 v[3:4], v[5:6], v[15:16]
	flat_atomic_cmpswap_x2 v[3:4], v[13:14], v[3:6] glc
	s_waitcnt vmcnt(0) lgkmcnt(0)
	v_cmp_eq_u64_e32 vcc, v[3:4], v[5:6]
	v_mov_b32_e32 v6, v4
	s_or_b64 s[10:11], vcc, s[10:11]
	v_mov_b32_e32 v5, v3
	s_andn2_b64 exec, exec, s[10:11]
	s_cbranch_execnz .LBB4_55
.LBB4_56:
	s_or_b64 exec, exec, s[2:3]
	s_cmp_lg_u64 s[20:21], 0
	s_cbranch_scc1 .LBB4_8
.LBB4_57:
	s_load_dwordx2 s[10:11], s[4:5], 0x118
	s_add_u32 s1, s4, 0x118
	v_mov_b32_e32 v3, 0
	s_addc_u32 s3, s5, 0
	global_load_dword v4, v3, s[4:5] offset:294
	s_waitcnt lgkmcnt(0)
	s_cmp_lt_u32 s6, s10
	s_cselect_b32 s2, 12, 18
	s_add_u32 s2, s1, s2
	s_addc_u32 s3, s3, 0
	global_load_ushort v3, v3, s[2:3]
	v_mbcnt_lo_u32_b32 v13, -1, 0
	v_mbcnt_hi_u32_b32 v16, -1, v13
	s_waitcnt vmcnt(1)
	v_readfirstlane_b32 s1, v4
	s_lshr_b32 s2, s1, 16
	s_and_b32 s1, s1, 0xffff
	s_waitcnt vmcnt(0)
	v_readfirstlane_b32 s3, v3
	s_mul_i32 s1, s1, s3
	v_mul_lo_u32 v15, s1, v2
	v_mad_u32_u24 v6, v1, v3, v0
	s_mul_i32 s16, s1, s2
	s_ashr_i32 s17, s16, 31
	s_and_b32 s1, s16, 63
	v_add_u32_e32 v5, v15, v6
	s_cmp_eq_u32 s1, 0
	v_ashrrev_i32_e32 v4, 31, v5
	s_cbranch_scc1 .LBB4_107
; %bb.58:
	v_and_b32_e32 v3, 64, v16
	v_xor_b32_e32 v17, 1, v5
	v_and_or_b32 v13, v17, 63, v3
	v_lshlrev_b32_e32 v13, 2, v13
	ds_bpermute_b32 v18, v13, v12
	ds_bpermute_b32 v13, v13, v11
	v_xor_b32_e32 v19, 2, v5
	v_cmp_gt_i32_e64 s[2:3], s16, v17
	v_xor_b32_e32 v21, 4, v5
	s_waitcnt lgkmcnt(1)
	v_mov_b32_e32 v14, v18
	s_waitcnt lgkmcnt(0)
	v_cmp_lt_f64_e32 vcc, v[11:12], v[13:14]
	v_and_or_b32 v14, v19, 63, v3
	v_lshlrev_b32_e32 v17, 2, v14
	s_and_b64 vcc, s[2:3], vcc
	v_cndmask_b32_e32 v14, v12, v18, vcc
	v_cndmask_b32_e32 v13, v11, v13, vcc
	ds_bpermute_b32 v20, v17, v14
	ds_bpermute_b32 v17, v17, v13
	v_cmp_gt_i32_e64 s[2:3], s16, v19
	s_waitcnt lgkmcnt(1)
	v_mov_b32_e32 v18, v20
	s_waitcnt lgkmcnt(0)
	v_cmp_lt_f64_e32 vcc, v[13:14], v[17:18]
	v_and_or_b32 v18, v21, 63, v3
	v_lshlrev_b32_e32 v18, 2, v18
	s_and_b64 vcc, s[2:3], vcc
	v_cndmask_b32_e32 v14, v14, v20, vcc
	v_cndmask_b32_e32 v13, v13, v17, vcc
	ds_bpermute_b32 v19, v18, v14
	ds_bpermute_b32 v17, v18, v13
	v_xor_b32_e32 v20, 8, v5
	v_cmp_gt_i32_e64 s[2:3], s16, v21
	v_xor_b32_e32 v21, 16, v5
	s_waitcnt lgkmcnt(1)
	v_mov_b32_e32 v18, v19
	s_waitcnt lgkmcnt(0)
	v_cmp_lt_f64_e32 vcc, v[13:14], v[17:18]
	v_and_or_b32 v18, v20, 63, v3
	v_lshlrev_b32_e32 v18, 2, v18
	s_and_b64 vcc, s[2:3], vcc
	v_cndmask_b32_e32 v14, v14, v19, vcc
	v_cndmask_b32_e32 v13, v13, v17, vcc
	ds_bpermute_b32 v19, v18, v14
	ds_bpermute_b32 v17, v18, v13
	v_cmp_gt_i32_e64 s[2:3], s16, v20
	v_xor_b32_e32 v20, 32, v5
	s_waitcnt lgkmcnt(1)
	v_mov_b32_e32 v18, v19
	s_waitcnt lgkmcnt(0)
	v_cmp_lt_f64_e32 vcc, v[13:14], v[17:18]
	v_and_or_b32 v18, v21, 63, v3
	v_lshlrev_b32_e32 v18, 2, v18
	v_and_or_b32 v3, v20, 63, v3
	v_lshlrev_b32_e32 v3, 2, v3
	s_and_b64 vcc, s[2:3], vcc
	v_cndmask_b32_e32 v14, v14, v19, vcc
	v_cndmask_b32_e32 v13, v13, v17, vcc
	ds_bpermute_b32 v19, v18, v14
	ds_bpermute_b32 v17, v18, v13
	v_cmp_gt_i32_e64 s[2:3], s16, v21
	s_waitcnt lgkmcnt(1)
	v_mov_b32_e32 v18, v19
	s_waitcnt lgkmcnt(0)
	v_cmp_lt_f64_e32 vcc, v[13:14], v[17:18]
	s_and_b64 vcc, s[2:3], vcc
	v_cndmask_b32_e32 v14, v14, v19, vcc
	v_cndmask_b32_e32 v13, v13, v17, vcc
	ds_bpermute_b32 v19, v3, v14
	ds_bpermute_b32 v17, v3, v13
	v_cmp_gt_i32_e64 s[2:3], s16, v20
	s_waitcnt lgkmcnt(1)
	v_mov_b32_e32 v18, v19
	s_waitcnt lgkmcnt(0)
	v_cmp_lt_f64_e32 vcc, v[13:14], v[17:18]
	s_and_b64 vcc, s[2:3], vcc
	v_cndmask_b32_e32 v14, v14, v19, vcc
	v_cndmask_b32_e32 v13, v13, v17, vcc
	s_cbranch_execnz .LBB4_60
.LBB4_59:
	v_and_b32_e32 v3, 64, v16
	v_add_u32_e32 v3, 64, v3
	v_xor_b32_e32 v13, 1, v16
	v_cmp_lt_i32_e32 vcc, v13, v3
	v_cndmask_b32_e32 v13, v16, v13, vcc
	v_lshlrev_b32_e32 v13, 2, v13
	ds_bpermute_b32 v17, v13, v12
	ds_bpermute_b32 v13, v13, v11
	s_waitcnt lgkmcnt(1)
	v_mov_b32_e32 v14, v17
	s_waitcnt lgkmcnt(0)
	v_cmp_lt_f64_e32 vcc, v[11:12], v[13:14]
	v_xor_b32_e32 v14, 2, v16
	v_cmp_lt_i32_e64 s[2:3], v14, v3
	v_cndmask_b32_e64 v14, v16, v14, s[2:3]
	v_lshlrev_b32_e32 v14, 2, v14
	v_cndmask_b32_e32 v12, v12, v17, vcc
	ds_bpermute_b32 v17, v14, v12
	v_cndmask_b32_e32 v11, v11, v13, vcc
	ds_bpermute_b32 v13, v14, v11
	s_waitcnt lgkmcnt(1)
	v_mov_b32_e32 v14, v17
	s_waitcnt lgkmcnt(0)
	v_cmp_lt_f64_e32 vcc, v[11:12], v[13:14]
	v_xor_b32_e32 v14, 4, v16
	v_cmp_lt_i32_e64 s[2:3], v14, v3
	v_cndmask_b32_e64 v14, v16, v14, s[2:3]
	v_lshlrev_b32_e32 v14, 2, v14
	v_cndmask_b32_e32 v12, v12, v17, vcc
	ds_bpermute_b32 v17, v14, v12
	v_cndmask_b32_e32 v11, v11, v13, vcc
	;; [unrolled: 12-line block ×4, first 2 shown]
	ds_bpermute_b32 v13, v14, v11
	s_waitcnt lgkmcnt(1)
	v_mov_b32_e32 v14, v17
	s_waitcnt lgkmcnt(0)
	v_cmp_lt_f64_e32 vcc, v[11:12], v[13:14]
	v_xor_b32_e32 v14, 32, v16
	v_cmp_lt_i32_e64 s[2:3], v14, v3
	v_cndmask_b32_e64 v3, v16, v14, s[2:3]
	v_lshlrev_b32_e32 v3, 2, v3
	v_cndmask_b32_e32 v12, v12, v17, vcc
	v_cndmask_b32_e32 v11, v11, v13, vcc
	ds_bpermute_b32 v17, v3, v12
	ds_bpermute_b32 v13, v3, v11
	s_waitcnt lgkmcnt(1)
	v_mov_b32_e32 v14, v17
	s_waitcnt lgkmcnt(0)
	v_cmp_lt_f64_e32 vcc, v[11:12], v[13:14]
	v_cndmask_b32_e32 v14, v12, v17, vcc
	v_cndmask_b32_e32 v13, v11, v13, vcc
.LBB4_60:
	s_cmpk_lt_i32 s16, 0x41
	s_cbranch_scc1 .LBB4_68
; %bb.61:
	v_lshrrev_b32_e32 v3, 26, v4
	v_add_u32_e32 v11, v5, v3
	v_and_b32_e32 v3, 0xffffffc0, v11
	v_sub_u32_e32 v3, v5, v3
	v_cmp_eq_u32_e32 vcc, 0, v3
	s_and_saveexec_b64 s[2:3], vcc
; %bb.62:
	v_ashrrev_i32_e32 v11, 6, v11
	v_lshlrev_b32_e32 v11, 3, v11
	ds_write_b64 v11, v[13:14]
; %bb.63:
	s_or_b64 exec, exec, s[2:3]
	v_add_co_u32_e32 v11, vcc, 63, v5
	v_addc_co_u32_e32 v12, vcc, 0, v4, vcc
	s_mov_b64 s[2:3], 0x7f
	v_cmp_gt_u64_e32 vcc, s[2:3], v[11:12]
	s_waitcnt lgkmcnt(0)
	s_barrier
	s_and_saveexec_b64 s[20:21], vcc
	s_cbranch_execz .LBB4_67
; %bb.64:
	v_ashrrev_i32_e32 v4, 31, v3
	v_lshlrev_b64 v[4:5], 6, v[3:4]
	v_cmp_gt_i64_e32 vcc, s[16:17], v[4:5]
	v_mov_b32_e32 v4, s44
	v_mov_b32_e32 v5, s45
	s_and_saveexec_b64 s[2:3], vcc
; %bb.65:
	v_lshlrev_b32_e32 v3, 3, v3
	ds_read_b64 v[4:5], v3
; %bb.66:
	s_or_b64 exec, exec, s[2:3]
	v_and_b32_e32 v3, 64, v16
	v_add_u32_e32 v3, 64, v3
	v_xor_b32_e32 v11, 1, v16
	v_cmp_lt_i32_e32 vcc, v11, v3
	v_cndmask_b32_e32 v11, v16, v11, vcc
	v_lshlrev_b32_e32 v11, 2, v11
	s_waitcnt lgkmcnt(0)
	ds_bpermute_b32 v13, v11, v5
	ds_bpermute_b32 v11, v11, v4
	s_waitcnt lgkmcnt(1)
	v_mov_b32_e32 v12, v13
	s_waitcnt lgkmcnt(0)
	v_cmp_lt_f64_e32 vcc, v[4:5], v[11:12]
	v_xor_b32_e32 v12, 2, v16
	v_cmp_lt_i32_e64 s[2:3], v12, v3
	v_cndmask_b32_e64 v12, v16, v12, s[2:3]
	v_lshlrev_b32_e32 v12, 2, v12
	v_cndmask_b32_e32 v5, v5, v13, vcc
	ds_bpermute_b32 v13, v12, v5
	v_cndmask_b32_e32 v4, v4, v11, vcc
	ds_bpermute_b32 v11, v12, v4
	s_waitcnt lgkmcnt(1)
	v_mov_b32_e32 v12, v13
	s_waitcnt lgkmcnt(0)
	v_cmp_lt_f64_e32 vcc, v[4:5], v[11:12]
	v_xor_b32_e32 v12, 4, v16
	v_cmp_lt_i32_e64 s[2:3], v12, v3
	v_cndmask_b32_e64 v12, v16, v12, s[2:3]
	v_lshlrev_b32_e32 v12, 2, v12
	v_cndmask_b32_e32 v5, v5, v13, vcc
	ds_bpermute_b32 v13, v12, v5
	v_cndmask_b32_e32 v4, v4, v11, vcc
	ds_bpermute_b32 v11, v12, v4
	s_waitcnt lgkmcnt(1)
	v_mov_b32_e32 v12, v13
	s_waitcnt lgkmcnt(0)
	v_cmp_lt_f64_e32 vcc, v[4:5], v[11:12]
	v_xor_b32_e32 v12, 8, v16
	v_cmp_lt_i32_e64 s[2:3], v12, v3
	v_cndmask_b32_e64 v3, v16, v12, s[2:3]
	v_lshlrev_b32_e32 v3, 2, v3
	v_cndmask_b32_e32 v5, v5, v13, vcc
	v_cndmask_b32_e32 v4, v4, v11, vcc
	ds_bpermute_b32 v13, v3, v5
	ds_bpermute_b32 v11, v3, v4
	s_waitcnt lgkmcnt(1)
	v_mov_b32_e32 v12, v13
	s_waitcnt lgkmcnt(0)
	v_cmp_lt_f64_e32 vcc, v[4:5], v[11:12]
	v_cndmask_b32_e32 v14, v5, v13, vcc
	v_cndmask_b32_e32 v13, v4, v11, vcc
.LBB4_67:
	s_or_b64 exec, exec, s[20:21]
	s_barrier
.LBB4_68:
	v_cmp_neq_f64_e32 vcc, s[44:45], v[13:14]
	v_sub_u32_e32 v3, 0, v15
	v_cmp_eq_u32_e64 s[2:3], v6, v3
	s_and_b64 s[2:3], s[2:3], vcc
	s_and_saveexec_b64 s[16:17], s[2:3]
	s_cbranch_execz .LBB4_72
; %bb.69:
	s_mul_i32 s1, s11, s8
	s_add_i32 s1, s1, s0
	s_mul_i32 s1, s1, s10
	s_add_i32 s1, s1, s6
	s_ashr_i32 s2, s1, 31
	s_lshr_b32 s2, s2, 27
	s_add_i32 s2, s1, s2
	s_and_b32 s2, s2, 0x1fffffe0
	s_sub_i32 s1, s1, s2
	s_lshl_b32 s2, s1, 3
	s_ashr_i32 s3, s2, 31
	s_lshl_b64 s[2:3], s[2:3], 3
	s_add_u32 s2, s22, s2
	s_addc_u32 s3, s23, s3
	v_mov_b32_e32 v4, s3
	v_mov_b32_e32 v3, s2
	flat_load_dwordx2 v[5:6], v[3:4] glc
	s_waitcnt vmcnt(0) lgkmcnt(0)
	v_cmp_nle_f64_e32 vcc, v[13:14], v[5:6]
	s_and_b64 exec, exec, vcc
	s_cbranch_execz .LBB4_72
; %bb.70:
	v_mov_b32_e32 v12, s3
	s_mov_b64 s[10:11], 0
	v_mov_b32_e32 v11, s2
.LBB4_71:                               ; =>This Inner Loop Header: Depth=1
	v_cmp_lt_f64_e32 vcc, v[5:6], v[13:14]
	v_cndmask_b32_e32 v4, v6, v14, vcc
	v_cndmask_b32_e32 v3, v5, v13, vcc
	flat_atomic_cmpswap_x2 v[3:4], v[11:12], v[3:6] glc
	s_waitcnt vmcnt(0) lgkmcnt(0)
	v_cmp_le_f64_e32 vcc, v[13:14], v[3:4]
	v_cmp_eq_u64_e64 s[2:3], v[3:4], v[5:6]
	v_mov_b32_e32 v6, v4
	v_mov_b32_e32 v5, v3
	s_or_b64 s[2:3], s[2:3], vcc
	s_and_b64 s[2:3], exec, s[2:3]
	s_or_b64 s[10:11], s[2:3], s[10:11]
	s_andn2_b64 exec, exec, s[10:11]
	s_cbranch_execnz .LBB4_71
.LBB4_72:
	s_or_b64 exec, exec, s[16:17]
	s_cmp_lg_u64 s[18:19], 0
	s_cbranch_scc1 .LBB4_9
.LBB4_73:
	s_load_dwordx2 s[10:11], s[4:5], 0x118
	s_add_u32 s1, s4, 0x118
	v_mov_b32_e32 v3, 0
	s_addc_u32 s3, s5, 0
	global_load_dword v4, v3, s[4:5] offset:294
	s_waitcnt lgkmcnt(0)
	s_cmp_lt_u32 s6, s10
	s_cselect_b32 s2, 12, 18
	s_add_u32 s2, s1, s2
	s_addc_u32 s3, s3, 0
	global_load_ushort v3, v3, s[2:3]
	v_mbcnt_lo_u32_b32 v11, -1, 0
	v_mbcnt_hi_u32_b32 v14, -1, v11
	s_waitcnt vmcnt(1)
	v_readfirstlane_b32 s1, v4
	s_lshr_b32 s2, s1, 16
	s_and_b32 s1, s1, 0xffff
	s_waitcnt vmcnt(0)
	v_readfirstlane_b32 s3, v3
	s_mul_i32 s1, s1, s3
	v_mul_lo_u32 v13, s1, v2
	v_mad_u32_u24 v6, v1, v3, v0
	s_mul_i32 s16, s1, s2
	s_ashr_i32 s17, s16, 31
	s_and_b32 s1, s16, 63
	v_add_u32_e32 v5, v13, v6
	s_cmp_eq_u32 s1, 0
	v_ashrrev_i32_e32 v4, 31, v5
	s_cbranch_scc1 .LBB4_108
; %bb.74:
	v_and_b32_e32 v3, 64, v14
	v_xor_b32_e32 v15, 1, v5
	v_and_or_b32 v11, v15, 63, v3
	v_lshlrev_b32_e32 v11, 2, v11
	ds_bpermute_b32 v16, v11, v10
	ds_bpermute_b32 v11, v11, v9
	v_xor_b32_e32 v17, 2, v5
	v_cmp_gt_i32_e64 s[2:3], s16, v15
	v_xor_b32_e32 v19, 4, v5
	s_waitcnt lgkmcnt(1)
	v_mov_b32_e32 v12, v16
	s_waitcnt lgkmcnt(0)
	v_cmp_gt_f64_e32 vcc, v[9:10], v[11:12]
	v_and_or_b32 v12, v17, 63, v3
	v_lshlrev_b32_e32 v15, 2, v12
	s_and_b64 vcc, s[2:3], vcc
	v_cndmask_b32_e32 v12, v10, v16, vcc
	v_cndmask_b32_e32 v11, v9, v11, vcc
	ds_bpermute_b32 v18, v15, v12
	ds_bpermute_b32 v15, v15, v11
	v_cmp_gt_i32_e64 s[2:3], s16, v17
	s_waitcnt lgkmcnt(1)
	v_mov_b32_e32 v16, v18
	s_waitcnt lgkmcnt(0)
	v_cmp_gt_f64_e32 vcc, v[11:12], v[15:16]
	v_and_or_b32 v16, v19, 63, v3
	v_lshlrev_b32_e32 v16, 2, v16
	s_and_b64 vcc, s[2:3], vcc
	v_cndmask_b32_e32 v12, v12, v18, vcc
	v_cndmask_b32_e32 v11, v11, v15, vcc
	ds_bpermute_b32 v17, v16, v12
	ds_bpermute_b32 v15, v16, v11
	v_xor_b32_e32 v18, 8, v5
	v_cmp_gt_i32_e64 s[2:3], s16, v19
	v_xor_b32_e32 v19, 16, v5
	s_waitcnt lgkmcnt(1)
	v_mov_b32_e32 v16, v17
	s_waitcnt lgkmcnt(0)
	v_cmp_gt_f64_e32 vcc, v[11:12], v[15:16]
	v_and_or_b32 v16, v18, 63, v3
	v_lshlrev_b32_e32 v16, 2, v16
	s_and_b64 vcc, s[2:3], vcc
	v_cndmask_b32_e32 v12, v12, v17, vcc
	v_cndmask_b32_e32 v11, v11, v15, vcc
	ds_bpermute_b32 v17, v16, v12
	ds_bpermute_b32 v15, v16, v11
	v_cmp_gt_i32_e64 s[2:3], s16, v18
	v_xor_b32_e32 v18, 32, v5
	s_waitcnt lgkmcnt(1)
	v_mov_b32_e32 v16, v17
	s_waitcnt lgkmcnt(0)
	v_cmp_gt_f64_e32 vcc, v[11:12], v[15:16]
	v_and_or_b32 v16, v19, 63, v3
	v_lshlrev_b32_e32 v16, 2, v16
	v_and_or_b32 v3, v18, 63, v3
	v_lshlrev_b32_e32 v3, 2, v3
	s_and_b64 vcc, s[2:3], vcc
	v_cndmask_b32_e32 v12, v12, v17, vcc
	v_cndmask_b32_e32 v11, v11, v15, vcc
	ds_bpermute_b32 v17, v16, v12
	ds_bpermute_b32 v15, v16, v11
	v_cmp_gt_i32_e64 s[2:3], s16, v19
	s_waitcnt lgkmcnt(1)
	v_mov_b32_e32 v16, v17
	s_waitcnt lgkmcnt(0)
	v_cmp_gt_f64_e32 vcc, v[11:12], v[15:16]
	s_and_b64 vcc, s[2:3], vcc
	v_cndmask_b32_e32 v12, v12, v17, vcc
	v_cndmask_b32_e32 v11, v11, v15, vcc
	ds_bpermute_b32 v17, v3, v12
	ds_bpermute_b32 v15, v3, v11
	v_cmp_gt_i32_e64 s[2:3], s16, v18
	s_waitcnt lgkmcnt(1)
	v_mov_b32_e32 v16, v17
	s_waitcnt lgkmcnt(0)
	v_cmp_gt_f64_e32 vcc, v[11:12], v[15:16]
	s_and_b64 vcc, s[2:3], vcc
	v_cndmask_b32_e32 v12, v12, v17, vcc
	v_cndmask_b32_e32 v11, v11, v15, vcc
	s_cbranch_execnz .LBB4_76
.LBB4_75:
	v_and_b32_e32 v3, 64, v14
	v_add_u32_e32 v3, 64, v3
	v_xor_b32_e32 v11, 1, v14
	v_cmp_lt_i32_e32 vcc, v11, v3
	v_cndmask_b32_e32 v11, v14, v11, vcc
	v_lshlrev_b32_e32 v11, 2, v11
	ds_bpermute_b32 v15, v11, v10
	ds_bpermute_b32 v11, v11, v9
	s_waitcnt lgkmcnt(1)
	v_mov_b32_e32 v12, v15
	s_waitcnt lgkmcnt(0)
	v_cmp_gt_f64_e32 vcc, v[9:10], v[11:12]
	v_xor_b32_e32 v12, 2, v14
	v_cmp_lt_i32_e64 s[2:3], v12, v3
	v_cndmask_b32_e64 v12, v14, v12, s[2:3]
	v_lshlrev_b32_e32 v12, 2, v12
	v_cndmask_b32_e32 v10, v10, v15, vcc
	ds_bpermute_b32 v15, v12, v10
	v_cndmask_b32_e32 v9, v9, v11, vcc
	ds_bpermute_b32 v11, v12, v9
	s_waitcnt lgkmcnt(1)
	v_mov_b32_e32 v12, v15
	s_waitcnt lgkmcnt(0)
	v_cmp_gt_f64_e32 vcc, v[9:10], v[11:12]
	v_xor_b32_e32 v12, 4, v14
	v_cmp_lt_i32_e64 s[2:3], v12, v3
	v_cndmask_b32_e64 v12, v14, v12, s[2:3]
	v_lshlrev_b32_e32 v12, 2, v12
	v_cndmask_b32_e32 v10, v10, v15, vcc
	ds_bpermute_b32 v15, v12, v10
	v_cndmask_b32_e32 v9, v9, v11, vcc
	;; [unrolled: 12-line block ×4, first 2 shown]
	ds_bpermute_b32 v11, v12, v9
	s_waitcnt lgkmcnt(1)
	v_mov_b32_e32 v12, v15
	s_waitcnt lgkmcnt(0)
	v_cmp_gt_f64_e32 vcc, v[9:10], v[11:12]
	v_xor_b32_e32 v12, 32, v14
	v_cmp_lt_i32_e64 s[2:3], v12, v3
	v_cndmask_b32_e64 v3, v14, v12, s[2:3]
	v_lshlrev_b32_e32 v3, 2, v3
	v_cndmask_b32_e32 v10, v10, v15, vcc
	v_cndmask_b32_e32 v9, v9, v11, vcc
	ds_bpermute_b32 v15, v3, v10
	ds_bpermute_b32 v11, v3, v9
	s_waitcnt lgkmcnt(1)
	v_mov_b32_e32 v12, v15
	s_waitcnt lgkmcnt(0)
	v_cmp_gt_f64_e32 vcc, v[9:10], v[11:12]
	v_cndmask_b32_e32 v12, v10, v15, vcc
	v_cndmask_b32_e32 v11, v9, v11, vcc
.LBB4_76:
	s_cmpk_lt_i32 s16, 0x41
	s_cbranch_scc1 .LBB4_84
; %bb.77:
	v_lshrrev_b32_e32 v3, 26, v4
	v_add_u32_e32 v9, v5, v3
	v_and_b32_e32 v3, 0xffffffc0, v9
	v_sub_u32_e32 v3, v5, v3
	v_cmp_eq_u32_e32 vcc, 0, v3
	s_and_saveexec_b64 s[2:3], vcc
; %bb.78:
	v_ashrrev_i32_e32 v9, 6, v9
	v_lshlrev_b32_e32 v9, 3, v9
	ds_write_b64 v9, v[11:12] offset:128
; %bb.79:
	s_or_b64 exec, exec, s[2:3]
	v_add_co_u32_e32 v9, vcc, 63, v5
	v_addc_co_u32_e32 v10, vcc, 0, v4, vcc
	s_mov_b64 s[2:3], 0x7f
	v_cmp_gt_u64_e32 vcc, s[2:3], v[9:10]
	s_waitcnt lgkmcnt(0)
	s_barrier
	s_and_saveexec_b64 s[18:19], vcc
	s_cbranch_execz .LBB4_83
; %bb.80:
	v_ashrrev_i32_e32 v4, 31, v3
	v_lshlrev_b64 v[4:5], 6, v[3:4]
	v_cmp_gt_i64_e32 vcc, s[16:17], v[4:5]
	v_mov_b32_e32 v4, s42
	v_mov_b32_e32 v5, s43
	s_and_saveexec_b64 s[2:3], vcc
; %bb.81:
	v_lshlrev_b32_e32 v3, 3, v3
	ds_read_b64 v[4:5], v3 offset:128
; %bb.82:
	s_or_b64 exec, exec, s[2:3]
	v_and_b32_e32 v3, 64, v14
	v_add_u32_e32 v3, 64, v3
	v_xor_b32_e32 v9, 1, v14
	v_cmp_lt_i32_e32 vcc, v9, v3
	v_cndmask_b32_e32 v9, v14, v9, vcc
	v_lshlrev_b32_e32 v9, 2, v9
	s_waitcnt lgkmcnt(0)
	ds_bpermute_b32 v11, v9, v5
	ds_bpermute_b32 v9, v9, v4
	s_waitcnt lgkmcnt(1)
	v_mov_b32_e32 v10, v11
	s_waitcnt lgkmcnt(0)
	v_cmp_gt_f64_e32 vcc, v[4:5], v[9:10]
	v_xor_b32_e32 v10, 2, v14
	v_cmp_lt_i32_e64 s[2:3], v10, v3
	v_cndmask_b32_e64 v10, v14, v10, s[2:3]
	v_lshlrev_b32_e32 v10, 2, v10
	v_cndmask_b32_e32 v5, v5, v11, vcc
	ds_bpermute_b32 v11, v10, v5
	v_cndmask_b32_e32 v4, v4, v9, vcc
	ds_bpermute_b32 v9, v10, v4
	s_waitcnt lgkmcnt(1)
	v_mov_b32_e32 v10, v11
	s_waitcnt lgkmcnt(0)
	v_cmp_gt_f64_e32 vcc, v[4:5], v[9:10]
	v_xor_b32_e32 v10, 4, v14
	v_cmp_lt_i32_e64 s[2:3], v10, v3
	v_cndmask_b32_e64 v10, v14, v10, s[2:3]
	v_lshlrev_b32_e32 v10, 2, v10
	v_cndmask_b32_e32 v5, v5, v11, vcc
	ds_bpermute_b32 v11, v10, v5
	v_cndmask_b32_e32 v4, v4, v9, vcc
	ds_bpermute_b32 v9, v10, v4
	s_waitcnt lgkmcnt(1)
	v_mov_b32_e32 v10, v11
	s_waitcnt lgkmcnt(0)
	v_cmp_gt_f64_e32 vcc, v[4:5], v[9:10]
	v_xor_b32_e32 v10, 8, v14
	v_cmp_lt_i32_e64 s[2:3], v10, v3
	v_cndmask_b32_e64 v3, v14, v10, s[2:3]
	v_lshlrev_b32_e32 v3, 2, v3
	v_cndmask_b32_e32 v5, v5, v11, vcc
	v_cndmask_b32_e32 v4, v4, v9, vcc
	ds_bpermute_b32 v11, v3, v5
	ds_bpermute_b32 v9, v3, v4
	s_waitcnt lgkmcnt(1)
	v_mov_b32_e32 v10, v11
	s_waitcnt lgkmcnt(0)
	v_cmp_gt_f64_e32 vcc, v[4:5], v[9:10]
	v_cndmask_b32_e32 v12, v5, v11, vcc
	v_cndmask_b32_e32 v11, v4, v9, vcc
.LBB4_83:
	s_or_b64 exec, exec, s[18:19]
	s_barrier
.LBB4_84:
	v_cmp_neq_f64_e32 vcc, s[42:43], v[11:12]
	v_sub_u32_e32 v3, 0, v13
	v_cmp_eq_u32_e64 s[2:3], v6, v3
	s_and_b64 s[2:3], s[2:3], vcc
	s_and_saveexec_b64 s[16:17], s[2:3]
	s_cbranch_execz .LBB4_88
; %bb.85:
	s_mul_i32 s1, s11, s8
	s_add_i32 s1, s1, s0
	s_mul_i32 s1, s1, s10
	s_add_i32 s1, s1, s6
	s_ashr_i32 s2, s1, 31
	s_lshr_b32 s2, s2, 27
	s_add_i32 s2, s1, s2
	s_and_b32 s2, s2, 0x1fffffe0
	s_sub_i32 s1, s1, s2
	s_lshl_b32 s2, s1, 3
	s_ashr_i32 s3, s2, 31
	s_lshl_b64 s[2:3], s[2:3], 3
	s_add_u32 s2, s40, s2
	s_addc_u32 s3, s41, s3
	v_mov_b32_e32 v4, s3
	v_mov_b32_e32 v3, s2
	flat_load_dwordx2 v[5:6], v[3:4] glc
	s_waitcnt vmcnt(0) lgkmcnt(0)
	v_cmp_nge_f64_e32 vcc, v[11:12], v[5:6]
	s_and_b64 exec, exec, vcc
	s_cbranch_execz .LBB4_88
; %bb.86:
	v_mov_b32_e32 v10, s3
	s_mov_b64 s[10:11], 0
	v_mov_b32_e32 v9, s2
.LBB4_87:                               ; =>This Inner Loop Header: Depth=1
	v_cmp_lt_f64_e32 vcc, v[11:12], v[5:6]
	v_cndmask_b32_e32 v4, v6, v12, vcc
	v_cndmask_b32_e32 v3, v5, v11, vcc
	flat_atomic_cmpswap_x2 v[3:4], v[9:10], v[3:6] glc
	s_waitcnt vmcnt(0) lgkmcnt(0)
	v_cmp_ge_f64_e32 vcc, v[11:12], v[3:4]
	v_cmp_eq_u64_e64 s[2:3], v[3:4], v[5:6]
	v_mov_b32_e32 v6, v4
	v_mov_b32_e32 v5, v3
	s_or_b64 s[2:3], s[2:3], vcc
	s_and_b64 s[2:3], exec, s[2:3]
	s_or_b64 s[10:11], s[2:3], s[10:11]
	s_andn2_b64 exec, exec, s[10:11]
	s_cbranch_execnz .LBB4_87
.LBB4_88:
	s_or_b64 exec, exec, s[16:17]
	s_cmp_lg_u64 s[12:13], 0
	s_cbranch_scc1 .LBB4_103
.LBB4_89:
	s_load_dwordx2 s[10:11], s[4:5], 0x118
	s_add_u32 s1, s4, 0x118
	v_mov_b32_e32 v3, 0
	s_addc_u32 s3, s5, 0
	global_load_dword v4, v3, s[4:5] offset:294
	s_waitcnt lgkmcnt(0)
	s_cmp_lt_u32 s6, s10
	s_cselect_b32 s2, 12, 18
	s_add_u32 s2, s1, s2
	s_addc_u32 s3, s3, 0
	global_load_ushort v5, v3, s[2:3]
	v_mbcnt_lo_u32_b32 v9, -1, 0
	v_mbcnt_hi_u32_b32 v9, -1, v9
	s_waitcnt vmcnt(1)
	v_readfirstlane_b32 s1, v4
	s_lshr_b32 s2, s1, 16
	s_and_b32 s1, s1, 0xffff
	s_waitcnt vmcnt(0)
	v_readfirstlane_b32 s3, v5
	s_mul_i32 s1, s1, s3
	v_mul_lo_u32 v6, s1, v2
	v_mad_u32_u24 v3, v1, v5, v0
	s_mul_i32 s2, s1, s2
	s_ashr_i32 s3, s2, 31
	s_and_b32 s1, s2, 63
	v_add_u32_e32 v2, v6, v3
	s_cmp_eq_u32 s1, 0
	v_ashrrev_i32_e32 v1, 31, v2
	s_cbranch_scc1 .LBB4_109
; %bb.90:
	v_and_b32_e32 v0, 64, v9
	v_xor_b32_e32 v10, 1, v2
	v_and_or_b32 v4, v10, 63, v0
	v_lshlrev_b32_e32 v5, 2, v4
	ds_bpermute_b32 v4, v5, v7
	ds_bpermute_b32 v5, v5, v8
	v_xor_b32_e32 v12, 2, v2
	v_and_or_b32 v11, v12, 63, v0
	v_cmp_gt_i32_e32 vcc, s2, v10
	v_lshlrev_b32_e32 v11, 2, v11
	s_waitcnt lgkmcnt(0)
	v_add_f64 v[4:5], v[7:8], v[4:5]
	v_xor_b32_e32 v13, 4, v2
	v_and_or_b32 v14, v13, 63, v0
	v_lshlrev_b32_e32 v14, 2, v14
	v_cndmask_b32_e32 v5, v8, v5, vcc
	v_cndmask_b32_e32 v4, v7, v4, vcc
	ds_bpermute_b32 v10, v11, v4
	ds_bpermute_b32 v11, v11, v5
	v_cmp_gt_i32_e32 vcc, s2, v12
	v_xor_b32_e32 v12, 8, v2
	s_waitcnt lgkmcnt(0)
	v_add_f64 v[10:11], v[4:5], v[10:11]
	v_cndmask_b32_e32 v5, v5, v11, vcc
	v_cndmask_b32_e32 v4, v4, v10, vcc
	ds_bpermute_b32 v10, v14, v4
	ds_bpermute_b32 v11, v14, v5
	v_and_or_b32 v14, v12, 63, v0
	v_cmp_gt_i32_e32 vcc, s2, v13
	v_lshlrev_b32_e32 v14, 2, v14
	v_xor_b32_e32 v13, 16, v2
	s_waitcnt lgkmcnt(0)
	v_add_f64 v[10:11], v[4:5], v[10:11]
	v_cndmask_b32_e32 v5, v5, v11, vcc
	v_cndmask_b32_e32 v4, v4, v10, vcc
	ds_bpermute_b32 v10, v14, v4
	ds_bpermute_b32 v11, v14, v5
	v_and_or_b32 v14, v13, 63, v0
	v_cmp_gt_i32_e32 vcc, s2, v12
	v_lshlrev_b32_e32 v14, 2, v14
	v_xor_b32_e32 v12, 32, v2
	s_waitcnt lgkmcnt(0)
	v_add_f64 v[10:11], v[4:5], v[10:11]
	v_and_or_b32 v0, v12, 63, v0
	v_lshlrev_b32_e32 v0, 2, v0
	v_cndmask_b32_e32 v5, v5, v11, vcc
	v_cndmask_b32_e32 v4, v4, v10, vcc
	ds_bpermute_b32 v10, v14, v4
	ds_bpermute_b32 v11, v14, v5
	v_cmp_gt_i32_e32 vcc, s2, v13
	s_waitcnt lgkmcnt(0)
	v_add_f64 v[10:11], v[4:5], v[10:11]
	v_cndmask_b32_e32 v5, v5, v11, vcc
	v_cndmask_b32_e32 v4, v4, v10, vcc
	ds_bpermute_b32 v10, v0, v4
	ds_bpermute_b32 v11, v0, v5
	v_cmp_gt_i32_e32 vcc, s2, v12
	s_waitcnt lgkmcnt(0)
	v_add_f64 v[10:11], v[4:5], v[10:11]
	v_cndmask_b32_e32 v5, v5, v11, vcc
	v_cndmask_b32_e32 v4, v4, v10, vcc
	s_cbranch_execnz .LBB4_92
.LBB4_91:
	v_and_b32_e32 v0, 64, v9
	v_add_u32_e32 v0, 64, v0
	v_xor_b32_e32 v4, 1, v9
	v_cmp_lt_i32_e32 vcc, v4, v0
	v_cndmask_b32_e32 v4, v9, v4, vcc
	v_lshlrev_b32_e32 v5, 2, v4
	ds_bpermute_b32 v4, v5, v7
	ds_bpermute_b32 v5, v5, v8
	s_waitcnt lgkmcnt(0)
	v_add_f64 v[4:5], v[7:8], v[4:5]
	v_xor_b32_e32 v7, 2, v9
	v_cmp_lt_i32_e32 vcc, v7, v0
	v_cndmask_b32_e32 v7, v9, v7, vcc
	v_lshlrev_b32_e32 v8, 2, v7
	ds_bpermute_b32 v7, v8, v4
	ds_bpermute_b32 v8, v8, v5
	s_waitcnt lgkmcnt(0)
	v_add_f64 v[4:5], v[4:5], v[7:8]
	;; [unrolled: 8-line block ×6, first 2 shown]
.LBB4_92:
	s_cmpk_lt_i32 s2, 0x41
	s_cbranch_scc1 .LBB4_100
; %bb.93:
	v_lshrrev_b32_e32 v0, 26, v1
	v_add_u32_e32 v7, v2, v0
	v_and_b32_e32 v0, 0xffffffc0, v7
	v_sub_u32_e32 v0, v2, v0
	v_cmp_eq_u32_e32 vcc, 0, v0
	s_and_saveexec_b64 s[4:5], vcc
; %bb.94:
	v_ashrrev_i32_e32 v7, 6, v7
	v_lshlrev_b32_e32 v7, 3, v7
	ds_write_b64 v7, v[4:5] offset:256
; %bb.95:
	s_or_b64 exec, exec, s[4:5]
	v_add_co_u32_e32 v7, vcc, 63, v2
	v_addc_co_u32_e32 v8, vcc, 0, v1, vcc
	s_mov_b64 s[4:5], 0x7f
	v_cmp_gt_u64_e32 vcc, s[4:5], v[7:8]
	s_waitcnt lgkmcnt(0)
	s_barrier
	s_and_saveexec_b64 s[4:5], vcc
	s_cbranch_execz .LBB4_99
; %bb.96:
	v_ashrrev_i32_e32 v1, 31, v0
	v_lshlrev_b64 v[1:2], 6, v[0:1]
	v_cmp_gt_i64_e32 vcc, s[2:3], v[1:2]
	v_mov_b32_e32 v1, s34
	v_mov_b32_e32 v2, s35
	s_and_saveexec_b64 s[2:3], vcc
; %bb.97:
	v_lshlrev_b32_e32 v0, 3, v0
	ds_read_b64 v[1:2], v0 offset:256
; %bb.98:
	s_or_b64 exec, exec, s[2:3]
	v_and_b32_e32 v0, 64, v9
	v_add_u32_e32 v7, 64, v0
	v_xor_b32_e32 v0, 1, v9
	v_cmp_lt_i32_e32 vcc, v0, v7
	v_cndmask_b32_e32 v0, v9, v0, vcc
	v_lshlrev_b32_e32 v0, 2, v0
	s_waitcnt lgkmcnt(0)
	ds_bpermute_b32 v4, v0, v1
	ds_bpermute_b32 v5, v0, v2
	s_waitcnt lgkmcnt(0)
	v_add_f64 v[0:1], v[1:2], v[4:5]
	v_xor_b32_e32 v2, 2, v9
	v_cmp_lt_i32_e32 vcc, v2, v7
	v_cndmask_b32_e32 v2, v9, v2, vcc
	v_lshlrev_b32_e32 v2, 2, v2
	ds_bpermute_b32 v4, v2, v0
	ds_bpermute_b32 v5, v2, v1
	v_xor_b32_e32 v2, 4, v9
	v_cmp_lt_i32_e32 vcc, v2, v7
	v_cndmask_b32_e32 v2, v9, v2, vcc
	v_lshlrev_b32_e32 v2, 2, v2
	s_waitcnt lgkmcnt(0)
	v_add_f64 v[0:1], v[0:1], v[4:5]
	ds_bpermute_b32 v4, v2, v0
	ds_bpermute_b32 v5, v2, v1
	v_xor_b32_e32 v2, 8, v9
	v_cmp_lt_i32_e32 vcc, v2, v7
	v_cndmask_b32_e32 v2, v9, v2, vcc
	v_lshlrev_b32_e32 v2, 2, v2
	s_waitcnt lgkmcnt(0)
	v_add_f64 v[0:1], v[0:1], v[4:5]
	ds_bpermute_b32 v4, v2, v0
	ds_bpermute_b32 v5, v2, v1
	s_waitcnt lgkmcnt(0)
	v_add_f64 v[4:5], v[0:1], v[4:5]
.LBB4_99:
	s_or_b64 exec, exec, s[4:5]
	s_barrier
.LBB4_100:
	v_cmp_neq_f64_e32 vcc, s[34:35], v[4:5]
	v_sub_u32_e32 v0, 0, v6
	v_cmp_eq_u32_e64 s[2:3], v3, v0
	s_and_b64 s[2:3], s[2:3], vcc
	s_and_saveexec_b64 s[4:5], s[2:3]
	s_cbranch_execz .LBB4_103
; %bb.101:
	s_mul_i32 s1, s11, s8
	s_add_i32 s0, s1, s0
	s_mul_i32 s0, s0, s10
	s_add_i32 s0, s0, s6
	s_ashr_i32 s1, s0, 31
	s_lshr_b32 s1, s1, 27
	s_add_i32 s1, s0, s1
	s_and_b32 s1, s1, 0x1fffffe0
	s_sub_i32 s0, s0, s1
	s_lshl_b32 s0, s0, 3
	s_ashr_i32 s1, s0, 31
	s_lshl_b64 s[0:1], s[0:1], 3
	s_add_u32 s0, s14, s0
	s_addc_u32 s1, s15, s1
	v_mov_b32_e32 v7, s1
	v_mov_b32_e32 v6, s0
	flat_load_dwordx2 v[2:3], v[6:7]
	s_mov_b64 s[0:1], 0
.LBB4_102:                              ; =>This Inner Loop Header: Depth=1
	s_waitcnt vmcnt(0) lgkmcnt(0)
	v_add_f64 v[0:1], v[2:3], v[4:5]
	flat_atomic_cmpswap_x2 v[0:1], v[6:7], v[0:3] glc
	s_waitcnt vmcnt(0) lgkmcnt(0)
	v_cmp_eq_u64_e32 vcc, v[0:1], v[2:3]
	v_mov_b32_e32 v3, v1
	s_or_b64 s[0:1], vcc, s[0:1]
	v_mov_b32_e32 v2, v0
	s_andn2_b64 exec, exec, s[0:1]
	s_cbranch_execnz .LBB4_102
.LBB4_103:
	s_endpgm
.LBB4_104:
                                        ; implicit-def: $vgpr17_vgpr18
	s_branch .LBB4_12
.LBB4_105:
                                        ; implicit-def: $vgpr17_vgpr18
	s_branch .LBB4_28
.LBB4_106:
                                        ; implicit-def: $vgpr15_vgpr16
	s_branch .LBB4_44
.LBB4_107:
                                        ; implicit-def: $vgpr13_vgpr14
	s_branch .LBB4_59
.LBB4_108:
                                        ; implicit-def: $vgpr11_vgpr12
	s_branch .LBB4_75
.LBB4_109:
                                        ; implicit-def: $vgpr4_vgpr5
	s_branch .LBB4_91
	.section	.rodata,"a",@progbits
	.p2align	6, 0x0
	.amdhsa_kernel _ZN4RAJA6policy3hip4impl18forallp_hip_kernelINS1_8hip_execINS_17iteration_mapping11StridedLoopILm0EEENS_3hip11IndexGlobalILNS_9named_dimE0ELi256ELi0EEENS8_40AvoidDeviceMaxThreadOccupancyConcretizerINS8_34FractionOffsetOccupancyConcretizerINS_8FractionImLm1ELm1EEELln1EEEEELb1EEENS_9Iterators16numeric_iteratorIllPlEEZN8rajaperf5basic13REDUCE_STRUCT17runHipVariantRAJAILm256ENSN_13gpu_algorithm19block_atomic_helperENSN_11gpu_mapping40global_loop_occupancy_grid_stride_helperEEEvNSN_9VariantIDEEUllE_lNS_4expt15ForallParamPackIJEEES7_SB_TnNSt9enable_ifIXaaaasr3std10is_base_ofINS5_15StridedLoopBaseET4_EE5valuesr3std10is_base_ofINS5_15UnsizedLoopBaseES12_EE5valuegtsrT5_10block_sizeLi0EEmE4typeELm256EEEvT1_T0_T2_T3_
		.amdhsa_group_segment_fixed_size 384
		.amdhsa_private_segment_fixed_size 0
		.amdhsa_kernarg_size 536
		.amdhsa_user_sgpr_count 6
		.amdhsa_user_sgpr_private_segment_buffer 1
		.amdhsa_user_sgpr_dispatch_ptr 0
		.amdhsa_user_sgpr_queue_ptr 0
		.amdhsa_user_sgpr_kernarg_segment_ptr 1
		.amdhsa_user_sgpr_dispatch_id 0
		.amdhsa_user_sgpr_flat_scratch_init 0
		.amdhsa_user_sgpr_private_segment_size 0
		.amdhsa_uses_dynamic_stack 0
		.amdhsa_system_sgpr_private_segment_wavefront_offset 0
		.amdhsa_system_sgpr_workgroup_id_x 1
		.amdhsa_system_sgpr_workgroup_id_y 1
		.amdhsa_system_sgpr_workgroup_id_z 1
		.amdhsa_system_sgpr_workgroup_info 0
		.amdhsa_system_vgpr_workitem_id 2
		.amdhsa_next_free_vgpr 28
		.amdhsa_next_free_sgpr 54
		.amdhsa_reserve_vcc 1
		.amdhsa_reserve_flat_scratch 0
		.amdhsa_float_round_mode_32 0
		.amdhsa_float_round_mode_16_64 0
		.amdhsa_float_denorm_mode_32 3
		.amdhsa_float_denorm_mode_16_64 3
		.amdhsa_dx10_clamp 1
		.amdhsa_ieee_mode 1
		.amdhsa_fp16_overflow 0
		.amdhsa_exception_fp_ieee_invalid_op 0
		.amdhsa_exception_fp_denorm_src 0
		.amdhsa_exception_fp_ieee_div_zero 0
		.amdhsa_exception_fp_ieee_overflow 0
		.amdhsa_exception_fp_ieee_underflow 0
		.amdhsa_exception_fp_ieee_inexact 0
		.amdhsa_exception_int_div_zero 0
	.end_amdhsa_kernel
	.section	.text._ZN4RAJA6policy3hip4impl18forallp_hip_kernelINS1_8hip_execINS_17iteration_mapping11StridedLoopILm0EEENS_3hip11IndexGlobalILNS_9named_dimE0ELi256ELi0EEENS8_40AvoidDeviceMaxThreadOccupancyConcretizerINS8_34FractionOffsetOccupancyConcretizerINS_8FractionImLm1ELm1EEELln1EEEEELb1EEENS_9Iterators16numeric_iteratorIllPlEEZN8rajaperf5basic13REDUCE_STRUCT17runHipVariantRAJAILm256ENSN_13gpu_algorithm19block_atomic_helperENSN_11gpu_mapping40global_loop_occupancy_grid_stride_helperEEEvNSN_9VariantIDEEUllE_lNS_4expt15ForallParamPackIJEEES7_SB_TnNSt9enable_ifIXaaaasr3std10is_base_ofINS5_15StridedLoopBaseET4_EE5valuesr3std10is_base_ofINS5_15UnsizedLoopBaseES12_EE5valuegtsrT5_10block_sizeLi0EEmE4typeELm256EEEvT1_T0_T2_T3_,"axG",@progbits,_ZN4RAJA6policy3hip4impl18forallp_hip_kernelINS1_8hip_execINS_17iteration_mapping11StridedLoopILm0EEENS_3hip11IndexGlobalILNS_9named_dimE0ELi256ELi0EEENS8_40AvoidDeviceMaxThreadOccupancyConcretizerINS8_34FractionOffsetOccupancyConcretizerINS_8FractionImLm1ELm1EEELln1EEEEELb1EEENS_9Iterators16numeric_iteratorIllPlEEZN8rajaperf5basic13REDUCE_STRUCT17runHipVariantRAJAILm256ENSN_13gpu_algorithm19block_atomic_helperENSN_11gpu_mapping40global_loop_occupancy_grid_stride_helperEEEvNSN_9VariantIDEEUllE_lNS_4expt15ForallParamPackIJEEES7_SB_TnNSt9enable_ifIXaaaasr3std10is_base_ofINS5_15StridedLoopBaseET4_EE5valuesr3std10is_base_ofINS5_15UnsizedLoopBaseES12_EE5valuegtsrT5_10block_sizeLi0EEmE4typeELm256EEEvT1_T0_T2_T3_,comdat
.Lfunc_end4:
	.size	_ZN4RAJA6policy3hip4impl18forallp_hip_kernelINS1_8hip_execINS_17iteration_mapping11StridedLoopILm0EEENS_3hip11IndexGlobalILNS_9named_dimE0ELi256ELi0EEENS8_40AvoidDeviceMaxThreadOccupancyConcretizerINS8_34FractionOffsetOccupancyConcretizerINS_8FractionImLm1ELm1EEELln1EEEEELb1EEENS_9Iterators16numeric_iteratorIllPlEEZN8rajaperf5basic13REDUCE_STRUCT17runHipVariantRAJAILm256ENSN_13gpu_algorithm19block_atomic_helperENSN_11gpu_mapping40global_loop_occupancy_grid_stride_helperEEEvNSN_9VariantIDEEUllE_lNS_4expt15ForallParamPackIJEEES7_SB_TnNSt9enable_ifIXaaaasr3std10is_base_ofINS5_15StridedLoopBaseET4_EE5valuesr3std10is_base_ofINS5_15UnsizedLoopBaseES12_EE5valuegtsrT5_10block_sizeLi0EEmE4typeELm256EEEvT1_T0_T2_T3_, .Lfunc_end4-_ZN4RAJA6policy3hip4impl18forallp_hip_kernelINS1_8hip_execINS_17iteration_mapping11StridedLoopILm0EEENS_3hip11IndexGlobalILNS_9named_dimE0ELi256ELi0EEENS8_40AvoidDeviceMaxThreadOccupancyConcretizerINS8_34FractionOffsetOccupancyConcretizerINS_8FractionImLm1ELm1EEELln1EEEEELb1EEENS_9Iterators16numeric_iteratorIllPlEEZN8rajaperf5basic13REDUCE_STRUCT17runHipVariantRAJAILm256ENSN_13gpu_algorithm19block_atomic_helperENSN_11gpu_mapping40global_loop_occupancy_grid_stride_helperEEEvNSN_9VariantIDEEUllE_lNS_4expt15ForallParamPackIJEEES7_SB_TnNSt9enable_ifIXaaaasr3std10is_base_ofINS5_15StridedLoopBaseET4_EE5valuesr3std10is_base_ofINS5_15UnsizedLoopBaseES12_EE5valuegtsrT5_10block_sizeLi0EEmE4typeELm256EEEvT1_T0_T2_T3_
                                        ; -- End function
	.set _ZN4RAJA6policy3hip4impl18forallp_hip_kernelINS1_8hip_execINS_17iteration_mapping11StridedLoopILm0EEENS_3hip11IndexGlobalILNS_9named_dimE0ELi256ELi0EEENS8_40AvoidDeviceMaxThreadOccupancyConcretizerINS8_34FractionOffsetOccupancyConcretizerINS_8FractionImLm1ELm1EEELln1EEEEELb1EEENS_9Iterators16numeric_iteratorIllPlEEZN8rajaperf5basic13REDUCE_STRUCT17runHipVariantRAJAILm256ENSN_13gpu_algorithm19block_atomic_helperENSN_11gpu_mapping40global_loop_occupancy_grid_stride_helperEEEvNSN_9VariantIDEEUllE_lNS_4expt15ForallParamPackIJEEES7_SB_TnNSt9enable_ifIXaaaasr3std10is_base_ofINS5_15StridedLoopBaseET4_EE5valuesr3std10is_base_ofINS5_15UnsizedLoopBaseES12_EE5valuegtsrT5_10block_sizeLi0EEmE4typeELm256EEEvT1_T0_T2_T3_.num_vgpr, 28
	.set _ZN4RAJA6policy3hip4impl18forallp_hip_kernelINS1_8hip_execINS_17iteration_mapping11StridedLoopILm0EEENS_3hip11IndexGlobalILNS_9named_dimE0ELi256ELi0EEENS8_40AvoidDeviceMaxThreadOccupancyConcretizerINS8_34FractionOffsetOccupancyConcretizerINS_8FractionImLm1ELm1EEELln1EEEEELb1EEENS_9Iterators16numeric_iteratorIllPlEEZN8rajaperf5basic13REDUCE_STRUCT17runHipVariantRAJAILm256ENSN_13gpu_algorithm19block_atomic_helperENSN_11gpu_mapping40global_loop_occupancy_grid_stride_helperEEEvNSN_9VariantIDEEUllE_lNS_4expt15ForallParamPackIJEEES7_SB_TnNSt9enable_ifIXaaaasr3std10is_base_ofINS5_15StridedLoopBaseET4_EE5valuesr3std10is_base_ofINS5_15UnsizedLoopBaseES12_EE5valuegtsrT5_10block_sizeLi0EEmE4typeELm256EEEvT1_T0_T2_T3_.num_agpr, 0
	.set _ZN4RAJA6policy3hip4impl18forallp_hip_kernelINS1_8hip_execINS_17iteration_mapping11StridedLoopILm0EEENS_3hip11IndexGlobalILNS_9named_dimE0ELi256ELi0EEENS8_40AvoidDeviceMaxThreadOccupancyConcretizerINS8_34FractionOffsetOccupancyConcretizerINS_8FractionImLm1ELm1EEELln1EEEEELb1EEENS_9Iterators16numeric_iteratorIllPlEEZN8rajaperf5basic13REDUCE_STRUCT17runHipVariantRAJAILm256ENSN_13gpu_algorithm19block_atomic_helperENSN_11gpu_mapping40global_loop_occupancy_grid_stride_helperEEEvNSN_9VariantIDEEUllE_lNS_4expt15ForallParamPackIJEEES7_SB_TnNSt9enable_ifIXaaaasr3std10is_base_ofINS5_15StridedLoopBaseET4_EE5valuesr3std10is_base_ofINS5_15UnsizedLoopBaseES12_EE5valuegtsrT5_10block_sizeLi0EEmE4typeELm256EEEvT1_T0_T2_T3_.numbered_sgpr, 54
	.set _ZN4RAJA6policy3hip4impl18forallp_hip_kernelINS1_8hip_execINS_17iteration_mapping11StridedLoopILm0EEENS_3hip11IndexGlobalILNS_9named_dimE0ELi256ELi0EEENS8_40AvoidDeviceMaxThreadOccupancyConcretizerINS8_34FractionOffsetOccupancyConcretizerINS_8FractionImLm1ELm1EEELln1EEEEELb1EEENS_9Iterators16numeric_iteratorIllPlEEZN8rajaperf5basic13REDUCE_STRUCT17runHipVariantRAJAILm256ENSN_13gpu_algorithm19block_atomic_helperENSN_11gpu_mapping40global_loop_occupancy_grid_stride_helperEEEvNSN_9VariantIDEEUllE_lNS_4expt15ForallParamPackIJEEES7_SB_TnNSt9enable_ifIXaaaasr3std10is_base_ofINS5_15StridedLoopBaseET4_EE5valuesr3std10is_base_ofINS5_15UnsizedLoopBaseES12_EE5valuegtsrT5_10block_sizeLi0EEmE4typeELm256EEEvT1_T0_T2_T3_.num_named_barrier, 0
	.set _ZN4RAJA6policy3hip4impl18forallp_hip_kernelINS1_8hip_execINS_17iteration_mapping11StridedLoopILm0EEENS_3hip11IndexGlobalILNS_9named_dimE0ELi256ELi0EEENS8_40AvoidDeviceMaxThreadOccupancyConcretizerINS8_34FractionOffsetOccupancyConcretizerINS_8FractionImLm1ELm1EEELln1EEEEELb1EEENS_9Iterators16numeric_iteratorIllPlEEZN8rajaperf5basic13REDUCE_STRUCT17runHipVariantRAJAILm256ENSN_13gpu_algorithm19block_atomic_helperENSN_11gpu_mapping40global_loop_occupancy_grid_stride_helperEEEvNSN_9VariantIDEEUllE_lNS_4expt15ForallParamPackIJEEES7_SB_TnNSt9enable_ifIXaaaasr3std10is_base_ofINS5_15StridedLoopBaseET4_EE5valuesr3std10is_base_ofINS5_15UnsizedLoopBaseES12_EE5valuegtsrT5_10block_sizeLi0EEmE4typeELm256EEEvT1_T0_T2_T3_.private_seg_size, 0
	.set _ZN4RAJA6policy3hip4impl18forallp_hip_kernelINS1_8hip_execINS_17iteration_mapping11StridedLoopILm0EEENS_3hip11IndexGlobalILNS_9named_dimE0ELi256ELi0EEENS8_40AvoidDeviceMaxThreadOccupancyConcretizerINS8_34FractionOffsetOccupancyConcretizerINS_8FractionImLm1ELm1EEELln1EEEEELb1EEENS_9Iterators16numeric_iteratorIllPlEEZN8rajaperf5basic13REDUCE_STRUCT17runHipVariantRAJAILm256ENSN_13gpu_algorithm19block_atomic_helperENSN_11gpu_mapping40global_loop_occupancy_grid_stride_helperEEEvNSN_9VariantIDEEUllE_lNS_4expt15ForallParamPackIJEEES7_SB_TnNSt9enable_ifIXaaaasr3std10is_base_ofINS5_15StridedLoopBaseET4_EE5valuesr3std10is_base_ofINS5_15UnsizedLoopBaseES12_EE5valuegtsrT5_10block_sizeLi0EEmE4typeELm256EEEvT1_T0_T2_T3_.uses_vcc, 1
	.set _ZN4RAJA6policy3hip4impl18forallp_hip_kernelINS1_8hip_execINS_17iteration_mapping11StridedLoopILm0EEENS_3hip11IndexGlobalILNS_9named_dimE0ELi256ELi0EEENS8_40AvoidDeviceMaxThreadOccupancyConcretizerINS8_34FractionOffsetOccupancyConcretizerINS_8FractionImLm1ELm1EEELln1EEEEELb1EEENS_9Iterators16numeric_iteratorIllPlEEZN8rajaperf5basic13REDUCE_STRUCT17runHipVariantRAJAILm256ENSN_13gpu_algorithm19block_atomic_helperENSN_11gpu_mapping40global_loop_occupancy_grid_stride_helperEEEvNSN_9VariantIDEEUllE_lNS_4expt15ForallParamPackIJEEES7_SB_TnNSt9enable_ifIXaaaasr3std10is_base_ofINS5_15StridedLoopBaseET4_EE5valuesr3std10is_base_ofINS5_15UnsizedLoopBaseES12_EE5valuegtsrT5_10block_sizeLi0EEmE4typeELm256EEEvT1_T0_T2_T3_.uses_flat_scratch, 0
	.set _ZN4RAJA6policy3hip4impl18forallp_hip_kernelINS1_8hip_execINS_17iteration_mapping11StridedLoopILm0EEENS_3hip11IndexGlobalILNS_9named_dimE0ELi256ELi0EEENS8_40AvoidDeviceMaxThreadOccupancyConcretizerINS8_34FractionOffsetOccupancyConcretizerINS_8FractionImLm1ELm1EEELln1EEEEELb1EEENS_9Iterators16numeric_iteratorIllPlEEZN8rajaperf5basic13REDUCE_STRUCT17runHipVariantRAJAILm256ENSN_13gpu_algorithm19block_atomic_helperENSN_11gpu_mapping40global_loop_occupancy_grid_stride_helperEEEvNSN_9VariantIDEEUllE_lNS_4expt15ForallParamPackIJEEES7_SB_TnNSt9enable_ifIXaaaasr3std10is_base_ofINS5_15StridedLoopBaseET4_EE5valuesr3std10is_base_ofINS5_15UnsizedLoopBaseES12_EE5valuegtsrT5_10block_sizeLi0EEmE4typeELm256EEEvT1_T0_T2_T3_.has_dyn_sized_stack, 0
	.set _ZN4RAJA6policy3hip4impl18forallp_hip_kernelINS1_8hip_execINS_17iteration_mapping11StridedLoopILm0EEENS_3hip11IndexGlobalILNS_9named_dimE0ELi256ELi0EEENS8_40AvoidDeviceMaxThreadOccupancyConcretizerINS8_34FractionOffsetOccupancyConcretizerINS_8FractionImLm1ELm1EEELln1EEEEELb1EEENS_9Iterators16numeric_iteratorIllPlEEZN8rajaperf5basic13REDUCE_STRUCT17runHipVariantRAJAILm256ENSN_13gpu_algorithm19block_atomic_helperENSN_11gpu_mapping40global_loop_occupancy_grid_stride_helperEEEvNSN_9VariantIDEEUllE_lNS_4expt15ForallParamPackIJEEES7_SB_TnNSt9enable_ifIXaaaasr3std10is_base_ofINS5_15StridedLoopBaseET4_EE5valuesr3std10is_base_ofINS5_15UnsizedLoopBaseES12_EE5valuegtsrT5_10block_sizeLi0EEmE4typeELm256EEEvT1_T0_T2_T3_.has_recursion, 0
	.set _ZN4RAJA6policy3hip4impl18forallp_hip_kernelINS1_8hip_execINS_17iteration_mapping11StridedLoopILm0EEENS_3hip11IndexGlobalILNS_9named_dimE0ELi256ELi0EEENS8_40AvoidDeviceMaxThreadOccupancyConcretizerINS8_34FractionOffsetOccupancyConcretizerINS_8FractionImLm1ELm1EEELln1EEEEELb1EEENS_9Iterators16numeric_iteratorIllPlEEZN8rajaperf5basic13REDUCE_STRUCT17runHipVariantRAJAILm256ENSN_13gpu_algorithm19block_atomic_helperENSN_11gpu_mapping40global_loop_occupancy_grid_stride_helperEEEvNSN_9VariantIDEEUllE_lNS_4expt15ForallParamPackIJEEES7_SB_TnNSt9enable_ifIXaaaasr3std10is_base_ofINS5_15StridedLoopBaseET4_EE5valuesr3std10is_base_ofINS5_15UnsizedLoopBaseES12_EE5valuegtsrT5_10block_sizeLi0EEmE4typeELm256EEEvT1_T0_T2_T3_.has_indirect_call, 0
	.section	.AMDGPU.csdata,"",@progbits
; Kernel info:
; codeLenInByte = 9384
; TotalNumSgprs: 58
; NumVgprs: 28
; ScratchSize: 0
; MemoryBound: 0
; FloatMode: 240
; IeeeMode: 1
; LDSByteSize: 384 bytes/workgroup (compile time only)
; SGPRBlocks: 7
; VGPRBlocks: 6
; NumSGPRsForWavesPerEU: 58
; NumVGPRsForWavesPerEU: 28
; Occupancy: 9
; WaveLimiterHint : 1
; COMPUTE_PGM_RSRC2:SCRATCH_EN: 0
; COMPUTE_PGM_RSRC2:USER_SGPR: 6
; COMPUTE_PGM_RSRC2:TRAP_HANDLER: 0
; COMPUTE_PGM_RSRC2:TGID_X_EN: 1
; COMPUTE_PGM_RSRC2:TGID_Y_EN: 1
; COMPUTE_PGM_RSRC2:TGID_Z_EN: 1
; COMPUTE_PGM_RSRC2:TIDIG_COMP_CNT: 2
	.section	.text._ZN4RAJA6policy3hip4impl18forallp_hip_kernelINS1_8hip_execINS_17iteration_mapping11StridedLoopILm0EEENS_3hip11IndexGlobalILNS_9named_dimE0ELi256ELi0EEENS8_40AvoidDeviceMaxThreadOccupancyConcretizerINS8_34FractionOffsetOccupancyConcretizerINS_8FractionImLm1ELm1EEELln1EEEEELb1EEENS_9Iterators16numeric_iteratorIllPlEEZN8rajaperf5basic13REDUCE_STRUCT17runHipVariantRAJAILm256ENSN_13gpu_algorithm19block_device_helperENSN_11gpu_mapping40global_loop_occupancy_grid_stride_helperEEEvNSN_9VariantIDEEUllE_lNS_4expt15ForallParamPackIJEEES7_SB_TnNSt9enable_ifIXaaaasr3std10is_base_ofINS5_15StridedLoopBaseET4_EE5valuesr3std10is_base_ofINS5_15UnsizedLoopBaseES12_EE5valuegtsrT5_10block_sizeLi0EEmE4typeELm256EEEvT1_T0_T2_T3_,"axG",@progbits,_ZN4RAJA6policy3hip4impl18forallp_hip_kernelINS1_8hip_execINS_17iteration_mapping11StridedLoopILm0EEENS_3hip11IndexGlobalILNS_9named_dimE0ELi256ELi0EEENS8_40AvoidDeviceMaxThreadOccupancyConcretizerINS8_34FractionOffsetOccupancyConcretizerINS_8FractionImLm1ELm1EEELln1EEEEELb1EEENS_9Iterators16numeric_iteratorIllPlEEZN8rajaperf5basic13REDUCE_STRUCT17runHipVariantRAJAILm256ENSN_13gpu_algorithm19block_device_helperENSN_11gpu_mapping40global_loop_occupancy_grid_stride_helperEEEvNSN_9VariantIDEEUllE_lNS_4expt15ForallParamPackIJEEES7_SB_TnNSt9enable_ifIXaaaasr3std10is_base_ofINS5_15StridedLoopBaseET4_EE5valuesr3std10is_base_ofINS5_15UnsizedLoopBaseES12_EE5valuegtsrT5_10block_sizeLi0EEmE4typeELm256EEEvT1_T0_T2_T3_,comdat
	.protected	_ZN4RAJA6policy3hip4impl18forallp_hip_kernelINS1_8hip_execINS_17iteration_mapping11StridedLoopILm0EEENS_3hip11IndexGlobalILNS_9named_dimE0ELi256ELi0EEENS8_40AvoidDeviceMaxThreadOccupancyConcretizerINS8_34FractionOffsetOccupancyConcretizerINS_8FractionImLm1ELm1EEELln1EEEEELb1EEENS_9Iterators16numeric_iteratorIllPlEEZN8rajaperf5basic13REDUCE_STRUCT17runHipVariantRAJAILm256ENSN_13gpu_algorithm19block_device_helperENSN_11gpu_mapping40global_loop_occupancy_grid_stride_helperEEEvNSN_9VariantIDEEUllE_lNS_4expt15ForallParamPackIJEEES7_SB_TnNSt9enable_ifIXaaaasr3std10is_base_ofINS5_15StridedLoopBaseET4_EE5valuesr3std10is_base_ofINS5_15UnsizedLoopBaseES12_EE5valuegtsrT5_10block_sizeLi0EEmE4typeELm256EEEvT1_T0_T2_T3_ ; -- Begin function _ZN4RAJA6policy3hip4impl18forallp_hip_kernelINS1_8hip_execINS_17iteration_mapping11StridedLoopILm0EEENS_3hip11IndexGlobalILNS_9named_dimE0ELi256ELi0EEENS8_40AvoidDeviceMaxThreadOccupancyConcretizerINS8_34FractionOffsetOccupancyConcretizerINS_8FractionImLm1ELm1EEELln1EEEEELb1EEENS_9Iterators16numeric_iteratorIllPlEEZN8rajaperf5basic13REDUCE_STRUCT17runHipVariantRAJAILm256ENSN_13gpu_algorithm19block_device_helperENSN_11gpu_mapping40global_loop_occupancy_grid_stride_helperEEEvNSN_9VariantIDEEUllE_lNS_4expt15ForallParamPackIJEEES7_SB_TnNSt9enable_ifIXaaaasr3std10is_base_ofINS5_15StridedLoopBaseET4_EE5valuesr3std10is_base_ofINS5_15UnsizedLoopBaseES12_EE5valuegtsrT5_10block_sizeLi0EEmE4typeELm256EEEvT1_T0_T2_T3_
	.globl	_ZN4RAJA6policy3hip4impl18forallp_hip_kernelINS1_8hip_execINS_17iteration_mapping11StridedLoopILm0EEENS_3hip11IndexGlobalILNS_9named_dimE0ELi256ELi0EEENS8_40AvoidDeviceMaxThreadOccupancyConcretizerINS8_34FractionOffsetOccupancyConcretizerINS_8FractionImLm1ELm1EEELln1EEEEELb1EEENS_9Iterators16numeric_iteratorIllPlEEZN8rajaperf5basic13REDUCE_STRUCT17runHipVariantRAJAILm256ENSN_13gpu_algorithm19block_device_helperENSN_11gpu_mapping40global_loop_occupancy_grid_stride_helperEEEvNSN_9VariantIDEEUllE_lNS_4expt15ForallParamPackIJEEES7_SB_TnNSt9enable_ifIXaaaasr3std10is_base_ofINS5_15StridedLoopBaseET4_EE5valuesr3std10is_base_ofINS5_15UnsizedLoopBaseES12_EE5valuegtsrT5_10block_sizeLi0EEmE4typeELm256EEEvT1_T0_T2_T3_
	.p2align	8
	.type	_ZN4RAJA6policy3hip4impl18forallp_hip_kernelINS1_8hip_execINS_17iteration_mapping11StridedLoopILm0EEENS_3hip11IndexGlobalILNS_9named_dimE0ELi256ELi0EEENS8_40AvoidDeviceMaxThreadOccupancyConcretizerINS8_34FractionOffsetOccupancyConcretizerINS_8FractionImLm1ELm1EEELln1EEEEELb1EEENS_9Iterators16numeric_iteratorIllPlEEZN8rajaperf5basic13REDUCE_STRUCT17runHipVariantRAJAILm256ENSN_13gpu_algorithm19block_device_helperENSN_11gpu_mapping40global_loop_occupancy_grid_stride_helperEEEvNSN_9VariantIDEEUllE_lNS_4expt15ForallParamPackIJEEES7_SB_TnNSt9enable_ifIXaaaasr3std10is_base_ofINS5_15StridedLoopBaseET4_EE5valuesr3std10is_base_ofINS5_15UnsizedLoopBaseES12_EE5valuegtsrT5_10block_sizeLi0EEmE4typeELm256EEEvT1_T0_T2_T3_,@function
_ZN4RAJA6policy3hip4impl18forallp_hip_kernelINS1_8hip_execINS_17iteration_mapping11StridedLoopILm0EEENS_3hip11IndexGlobalILNS_9named_dimE0ELi256ELi0EEENS8_40AvoidDeviceMaxThreadOccupancyConcretizerINS8_34FractionOffsetOccupancyConcretizerINS_8FractionImLm1ELm1EEELln1EEEEELb1EEENS_9Iterators16numeric_iteratorIllPlEEZN8rajaperf5basic13REDUCE_STRUCT17runHipVariantRAJAILm256ENSN_13gpu_algorithm19block_device_helperENSN_11gpu_mapping40global_loop_occupancy_grid_stride_helperEEEvNSN_9VariantIDEEUllE_lNS_4expt15ForallParamPackIJEEES7_SB_TnNSt9enable_ifIXaaaasr3std10is_base_ofINS5_15StridedLoopBaseET4_EE5valuesr3std10is_base_ofINS5_15UnsizedLoopBaseES12_EE5valuegtsrT5_10block_sizeLi0EEmE4typeELm256EEEvT1_T0_T2_T3_: ; @_ZN4RAJA6policy3hip4impl18forallp_hip_kernelINS1_8hip_execINS_17iteration_mapping11StridedLoopILm0EEENS_3hip11IndexGlobalILNS_9named_dimE0ELi256ELi0EEENS8_40AvoidDeviceMaxThreadOccupancyConcretizerINS8_34FractionOffsetOccupancyConcretizerINS_8FractionImLm1ELm1EEELln1EEEEELb1EEENS_9Iterators16numeric_iteratorIllPlEEZN8rajaperf5basic13REDUCE_STRUCT17runHipVariantRAJAILm256ENSN_13gpu_algorithm19block_device_helperENSN_11gpu_mapping40global_loop_occupancy_grid_stride_helperEEEvNSN_9VariantIDEEUllE_lNS_4expt15ForallParamPackIJEEES7_SB_TnNSt9enable_ifIXaaaasr3std10is_base_ofINS5_15StridedLoopBaseET4_EE5valuesr3std10is_base_ofINS5_15UnsizedLoopBaseES12_EE5valuegtsrT5_10block_sizeLi0EEmE4typeELm256EEEvT1_T0_T2_T3_
; %bb.0:
	s_load_dwordx4 s[12:15], s[4:5], 0x160
	s_load_dwordx4 s[16:19], s[4:5], 0x18
	s_load_dwordx2 s[34:35], s[4:5], 0x28
	s_load_dwordx4 s[24:27], s[4:5], 0x38
	s_load_dwordx2 s[64:65], s[4:5], 0x48
	s_load_dwordx2 s[66:67], s[4:5], 0x68
	s_load_dwordx4 s[20:23], s[4:5], 0x58
	s_load_dwordx2 s[68:69], s[4:5], 0xa0
	s_load_dwordx4 s[28:31], s[4:5], 0x90
	;; [unrolled: 2-line block ×6, first 2 shown]
	s_mov_b32 s2, s7
	s_mov_b32 s7, 0
	s_lshl_b64 s[0:1], s[6:7], 8
	v_or_b32_e32 v15, s0, v0
	v_mov_b32_e32 v16, s1
	s_waitcnt lgkmcnt(0)
	v_mov_b32_e32 v13, s56
	v_mov_b32_e32 v11, s48
	;; [unrolled: 1-line block ×5, first 2 shown]
	v_cmp_gt_i64_e32 vcc, s[14:15], v[15:16]
	v_mov_b32_e32 v3, s16
	v_mov_b32_e32 v14, s57
	;; [unrolled: 1-line block ×7, first 2 shown]
	s_and_saveexec_b64 s[36:37], vcc
	s_cbranch_execz .LBB5_4
; %bb.1:
	s_load_dword s10, s[4:5], 0x178
	s_mov_b32 s11, s7
	v_mov_b32_e32 v13, s56
	v_mov_b32_e32 v11, s48
	;; [unrolled: 1-line block ×3, first 2 shown]
	s_waitcnt lgkmcnt(0)
	s_lshl_b64 s[38:39], s[10:11], 8
	s_add_u32 s0, s12, s0
	s_addc_u32 s1, s13, s1
	v_mov_b32_e32 v4, s1
	v_add_co_u32_e32 v3, vcc, s0, v0
	v_addc_co_u32_e32 v4, vcc, 0, v4, vcc
	v_lshlrev_b64 v[17:18], 3, v[3:4]
	v_mov_b32_e32 v7, s28
	v_mov_b32_e32 v5, s20
	;; [unrolled: 1-line block ×3, first 2 shown]
	s_lshl_b64 s[46:47], s[10:11], 11
	s_mov_b64 s[44:45], 0
	v_mov_b32_e32 v14, s57
	v_mov_b32_e32 v12, s49
	;; [unrolled: 1-line block ×6, first 2 shown]
.LBB5_2:                                ; =>This Inner Loop Header: Depth=1
	v_mov_b32_e32 v20, s25
	v_mov_b32_e32 v23, s53
	v_add_co_u32_e32 v19, vcc, s52, v17
	v_add_co_u32_e64 v21, s[0:1], s24, v17
	v_addc_co_u32_e64 v22, s[0:1], v20, v18, s[0:1]
	v_addc_co_u32_e32 v20, vcc, v23, v18, vcc
	global_load_dwordx2 v[21:22], v[21:22], off
	s_nop 0
	global_load_dwordx2 v[19:20], v[19:20], off
	v_mov_b32_e32 v23, s39
	v_mov_b32_e32 v24, s47
	v_add_co_u32_e32 v17, vcc, s46, v17
	v_add_co_u32_e64 v15, s[0:1], s38, v15
	v_addc_co_u32_e64 v16, s[0:1], v16, v23, s[0:1]
	v_addc_co_u32_e32 v18, vcc, v18, v24, vcc
	v_cmp_le_i64_e32 vcc, s[14:15], v[15:16]
	s_or_b64 s[44:45], vcc, s[44:45]
	s_waitcnt vmcnt(1)
	v_cmp_lt_f64_e32 vcc, v[21:22], v[5:6]
	v_cmp_lt_f64_e64 s[0:1], v[7:8], v[21:22]
	s_waitcnt vmcnt(0)
	v_cmp_lt_f64_e64 s[10:11], v[19:20], v[11:12]
	v_cmp_lt_f64_e64 s[12:13], v[13:14], v[19:20]
	v_add_f64 v[3:4], v[3:4], v[21:22]
	v_add_f64 v[9:10], v[9:10], v[19:20]
	v_cndmask_b32_e32 v6, v6, v22, vcc
	v_cndmask_b32_e64 v8, v8, v22, s[0:1]
	v_cndmask_b32_e64 v12, v12, v20, s[10:11]
	v_cndmask_b32_e64 v14, v14, v20, s[12:13]
	v_cndmask_b32_e32 v5, v5, v21, vcc
	v_cndmask_b32_e64 v7, v7, v21, s[0:1]
	v_cndmask_b32_e64 v11, v11, v19, s[10:11]
	;; [unrolled: 1-line block ×3, first 2 shown]
	s_andn2_b64 exec, exec, s[44:45]
	s_cbranch_execnz .LBB5_2
; %bb.3:
	s_or_b64 exec, exec, s[44:45]
.LBB5_4:
	s_or_b64 exec, exec, s[36:37]
	s_load_dwordx4 s[12:15], s[4:5], 0x0
	s_load_dwordx4 s[36:39], s[4:5], 0x78
	;; [unrolled: 1-line block ×4, first 2 shown]
	s_waitcnt lgkmcnt(0)
	s_cmp_lg_u64 s[60:61], 0
	s_cbranch_scc0 .LBB5_11
; %bb.5:
	s_cmp_lg_u64 s[54:55], 0
	s_cbranch_scc0 .LBB5_48
.LBB5_6:
	s_cmp_lg_u64 s[44:45], 0
	s_cbranch_scc0 .LBB5_85
.LBB5_7:
	s_cmp_lg_u64 s[36:37], 0
	s_cbranch_scc0 .LBB5_122
.LBB5_8:
	s_cmp_lg_u64 s[26:27], 0
	s_cbranch_scc0 .LBB5_159
.LBB5_9:
	s_cmp_lg_u64 s[12:13], 0
	s_cbranch_scc0 .LBB5_196
.LBB5_10:
	s_endpgm
.LBB5_11:
	s_load_dwordx2 s[10:11], s[4:5], 0x178
	s_add_u32 s0, s4, 0x178
	v_mov_b32_e32 v15, 0
	s_addc_u32 s1, s5, 0
	global_load_dword v16, v15, s[4:5] offset:390
	s_waitcnt lgkmcnt(0)
	s_cmp_lt_u32 s6, s10
	s_cselect_b32 s3, 12, 18
	s_add_u32 s0, s0, s3
	s_addc_u32 s1, s1, 0
	global_load_ushort v15, v15, s[0:1]
	v_mbcnt_lo_u32_b32 v17, -1, 0
	v_mbcnt_hi_u32_b32 v23, -1, v17
	s_waitcnt vmcnt(1)
	v_readfirstlane_b32 s0, v16
	s_lshr_b32 s1, s0, 16
	s_and_b32 s0, s0, 0xffff
	s_waitcnt vmcnt(0)
	v_readfirstlane_b32 s3, v15
	s_mul_i32 s0, s0, s3
	v_mul_u32_u24_e32 v16, v1, v15
	v_mul_lo_u32 v15, s0, v2
	s_mul_i32 s24, s0, s1
	s_ashr_i32 s25, s24, 31
	s_and_b32 s0, s24, 63
	s_cmp_lg_u32 s0, 0
	s_cselect_b64 s[60:61], -1, 0
	s_cmp_eq_u32 s0, 0
	v_add3_u32 v24, v16, v0, v15
	s_cbranch_scc1 .LBB5_232
; %bb.12:
	v_and_b32_e32 v19, 64, v23
	v_xor_b32_e32 v17, 1, v24
	v_and_or_b32 v15, v17, 63, v19
	v_lshlrev_b32_e32 v15, 2, v15
	ds_bpermute_b32 v18, v15, v14
	ds_bpermute_b32 v15, v15, v13
	v_xor_b32_e32 v20, 2, v24
	v_cmp_gt_i32_e64 s[0:1], s24, v17
	v_xor_b32_e32 v22, 4, v24
	s_waitcnt lgkmcnt(1)
	v_mov_b32_e32 v16, v18
	s_waitcnt lgkmcnt(0)
	v_cmp_lt_f64_e32 vcc, v[13:14], v[15:16]
	v_and_or_b32 v16, v20, 63, v19
	v_lshlrev_b32_e32 v17, 2, v16
	s_and_b64 vcc, s[0:1], vcc
	v_cndmask_b32_e32 v16, v14, v18, vcc
	v_cndmask_b32_e32 v15, v13, v15, vcc
	ds_bpermute_b32 v21, v17, v16
	ds_bpermute_b32 v17, v17, v15
	v_cmp_gt_i32_e64 s[0:1], s24, v20
	s_waitcnt lgkmcnt(1)
	v_mov_b32_e32 v18, v21
	s_waitcnt lgkmcnt(0)
	v_cmp_lt_f64_e32 vcc, v[15:16], v[17:18]
	v_and_or_b32 v18, v22, 63, v19
	v_lshlrev_b32_e32 v18, 2, v18
	s_and_b64 vcc, s[0:1], vcc
	v_cndmask_b32_e32 v16, v16, v21, vcc
	v_cndmask_b32_e32 v15, v15, v17, vcc
	ds_bpermute_b32 v20, v18, v16
	ds_bpermute_b32 v17, v18, v15
	v_xor_b32_e32 v21, 8, v24
	v_cmp_gt_i32_e64 s[0:1], s24, v22
	v_xor_b32_e32 v22, 16, v24
	s_waitcnt lgkmcnt(1)
	v_mov_b32_e32 v18, v20
	s_waitcnt lgkmcnt(0)
	v_cmp_lt_f64_e32 vcc, v[15:16], v[17:18]
	v_and_or_b32 v18, v21, 63, v19
	v_lshlrev_b32_e32 v18, 2, v18
	s_and_b64 vcc, s[0:1], vcc
	v_cndmask_b32_e32 v16, v16, v20, vcc
	v_cndmask_b32_e32 v15, v15, v17, vcc
	ds_bpermute_b32 v20, v18, v16
	ds_bpermute_b32 v17, v18, v15
	v_cmp_gt_i32_e64 s[0:1], s24, v21
	v_xor_b32_e32 v21, 32, v24
	s_waitcnt lgkmcnt(1)
	v_mov_b32_e32 v18, v20
	s_waitcnt lgkmcnt(0)
	v_cmp_lt_f64_e32 vcc, v[15:16], v[17:18]
	v_and_or_b32 v18, v22, 63, v19
	v_lshlrev_b32_e32 v18, 2, v18
	s_and_b64 vcc, s[0:1], vcc
	v_cndmask_b32_e32 v16, v16, v20, vcc
	v_cndmask_b32_e32 v15, v15, v17, vcc
	ds_bpermute_b32 v20, v18, v16
	ds_bpermute_b32 v17, v18, v15
	v_cmp_gt_i32_e64 s[0:1], s24, v22
	s_waitcnt lgkmcnt(1)
	v_mov_b32_e32 v18, v20
	s_waitcnt lgkmcnt(0)
	v_cmp_lt_f64_e32 vcc, v[15:16], v[17:18]
	v_and_or_b32 v18, v21, 63, v19
	v_lshlrev_b32_e32 v18, 2, v18
	s_and_b64 vcc, s[0:1], vcc
	v_cndmask_b32_e32 v16, v16, v20, vcc
	v_cndmask_b32_e32 v15, v15, v17, vcc
	ds_bpermute_b32 v19, v18, v16
	ds_bpermute_b32 v17, v18, v15
	v_cmp_gt_i32_e64 s[0:1], s24, v21
	s_waitcnt lgkmcnt(1)
	v_mov_b32_e32 v18, v19
	s_waitcnt lgkmcnt(0)
	v_cmp_lt_f64_e32 vcc, v[15:16], v[17:18]
	s_and_b64 vcc, s[0:1], vcc
	v_cndmask_b32_e32 v16, v16, v19, vcc
	v_cndmask_b32_e32 v15, v15, v17, vcc
	s_cbranch_execnz .LBB5_14
.LBB5_13:
	v_and_b32_e32 v15, 64, v23
	v_add_u32_e32 v19, 64, v15
	v_xor_b32_e32 v15, 1, v23
	v_cmp_lt_i32_e32 vcc, v15, v19
	v_cndmask_b32_e32 v15, v23, v15, vcc
	v_lshlrev_b32_e32 v15, 2, v15
	ds_bpermute_b32 v17, v15, v14
	ds_bpermute_b32 v15, v15, v13
	s_waitcnt lgkmcnt(1)
	v_mov_b32_e32 v16, v17
	s_waitcnt lgkmcnt(0)
	v_cmp_lt_f64_e32 vcc, v[13:14], v[15:16]
	v_xor_b32_e32 v16, 2, v23
	v_cmp_lt_i32_e64 s[0:1], v16, v19
	v_cndmask_b32_e64 v16, v23, v16, s[0:1]
	v_lshlrev_b32_e32 v18, 2, v16
	v_cndmask_b32_e32 v16, v14, v17, vcc
	ds_bpermute_b32 v20, v18, v16
	v_cndmask_b32_e32 v15, v13, v15, vcc
	ds_bpermute_b32 v17, v18, v15
	s_waitcnt lgkmcnt(1)
	v_mov_b32_e32 v18, v20
	s_waitcnt lgkmcnt(0)
	v_cmp_lt_f64_e32 vcc, v[15:16], v[17:18]
	v_xor_b32_e32 v18, 4, v23
	v_cmp_lt_i32_e64 s[0:1], v18, v19
	v_cndmask_b32_e64 v18, v23, v18, s[0:1]
	v_lshlrev_b32_e32 v18, 2, v18
	v_cndmask_b32_e32 v16, v16, v20, vcc
	ds_bpermute_b32 v20, v18, v16
	v_cndmask_b32_e32 v15, v15, v17, vcc
	;; [unrolled: 12-line block ×4, first 2 shown]
	ds_bpermute_b32 v17, v18, v15
	s_waitcnt lgkmcnt(1)
	v_mov_b32_e32 v18, v20
	s_waitcnt lgkmcnt(0)
	v_cmp_lt_f64_e32 vcc, v[15:16], v[17:18]
	v_xor_b32_e32 v18, 32, v23
	v_cmp_lt_i32_e64 s[0:1], v18, v19
	v_cndmask_b32_e64 v18, v23, v18, s[0:1]
	v_lshlrev_b32_e32 v18, 2, v18
	v_cndmask_b32_e32 v16, v16, v20, vcc
	v_cndmask_b32_e32 v15, v15, v17, vcc
	ds_bpermute_b32 v19, v18, v16
	ds_bpermute_b32 v17, v18, v15
	s_waitcnt lgkmcnt(1)
	v_mov_b32_e32 v18, v19
	s_waitcnt lgkmcnt(0)
	v_cmp_lt_f64_e32 vcc, v[15:16], v[17:18]
	v_cndmask_b32_e32 v16, v16, v19, vcc
	v_cndmask_b32_e32 v15, v15, v17, vcc
.LBB5_14:
	v_ashrrev_i32_e32 v25, 31, v24
	s_load_dword s3, s[4:5], 0x180
	v_lshrrev_b32_e32 v17, 26, v25
	v_add_u32_e32 v17, v24, v17
	v_ashrrev_i32_e32 v26, 6, v17
	v_and_b32_e32 v17, 0xffffffc0, v17
	v_sub_u32_e32 v17, v24, v17
	s_cmp_gt_i32 s24, 64
	s_cselect_b64 s[78:79], -1, 0
	s_cmpk_lt_i32 s24, 0x41
	v_ashrrev_i32_e32 v18, 31, v17
	s_cbranch_scc1 .LBB5_22
; %bb.15:
	v_cmp_eq_u32_e32 vcc, 0, v17
	s_and_saveexec_b64 s[0:1], vcc
; %bb.16:
	v_lshlrev_b32_e32 v19, 3, v26
	ds_write_b64 v19, v[15:16]
; %bb.17:
	s_or_b64 exec, exec, s[0:1]
	v_add_co_u32_e32 v19, vcc, 63, v24
	v_addc_co_u32_e32 v20, vcc, 0, v25, vcc
	s_mov_b64 s[0:1], 0x7f
	v_cmp_gt_u64_e32 vcc, s[0:1], v[19:20]
	s_waitcnt lgkmcnt(0)
	s_barrier
	s_and_saveexec_b64 s[52:53], vcc
	s_cbranch_execz .LBB5_21
; %bb.18:
	v_lshlrev_b64 v[15:16], 6, v[17:18]
	v_cmp_gt_i64_e32 vcc, s[24:25], v[15:16]
	v_mov_b32_e32 v15, s56
	v_mov_b32_e32 v16, s57
	s_and_saveexec_b64 s[0:1], vcc
; %bb.19:
	v_lshlrev_b32_e32 v15, 3, v17
	ds_read_b64 v[15:16], v15
; %bb.20:
	s_or_b64 exec, exec, s[0:1]
	v_and_b32_e32 v19, 64, v23
	v_add_u32_e32 v21, 64, v19
	v_xor_b32_e32 v19, 1, v23
	v_cmp_lt_i32_e32 vcc, v19, v21
	v_cndmask_b32_e32 v19, v23, v19, vcc
	v_lshlrev_b32_e32 v19, 2, v19
	s_waitcnt lgkmcnt(0)
	ds_bpermute_b32 v22, v19, v16
	ds_bpermute_b32 v19, v19, v15
	s_waitcnt lgkmcnt(1)
	v_mov_b32_e32 v20, v22
	s_waitcnt lgkmcnt(0)
	v_cmp_lt_f64_e32 vcc, v[15:16], v[19:20]
	v_xor_b32_e32 v20, 2, v23
	v_cmp_lt_i32_e64 s[0:1], v20, v21
	v_cndmask_b32_e64 v20, v23, v20, s[0:1]
	v_lshlrev_b32_e32 v20, 2, v20
	v_cndmask_b32_e32 v16, v16, v22, vcc
	ds_bpermute_b32 v22, v20, v16
	v_cndmask_b32_e32 v15, v15, v19, vcc
	ds_bpermute_b32 v19, v20, v15
	s_waitcnt lgkmcnt(1)
	v_mov_b32_e32 v20, v22
	s_waitcnt lgkmcnt(0)
	v_cmp_lt_f64_e32 vcc, v[15:16], v[19:20]
	v_xor_b32_e32 v20, 4, v23
	v_cmp_lt_i32_e64 s[0:1], v20, v21
	v_cndmask_b32_e64 v20, v23, v20, s[0:1]
	v_lshlrev_b32_e32 v20, 2, v20
	v_cndmask_b32_e32 v16, v16, v22, vcc
	ds_bpermute_b32 v22, v20, v16
	v_cndmask_b32_e32 v15, v15, v19, vcc
	ds_bpermute_b32 v19, v20, v15
	s_waitcnt lgkmcnt(1)
	v_mov_b32_e32 v20, v22
	s_waitcnt lgkmcnt(0)
	v_cmp_lt_f64_e32 vcc, v[15:16], v[19:20]
	v_xor_b32_e32 v20, 8, v23
	v_cmp_lt_i32_e64 s[0:1], v20, v21
	v_cndmask_b32_e64 v20, v23, v20, s[0:1]
	v_lshlrev_b32_e32 v20, 2, v20
	v_cndmask_b32_e32 v16, v16, v22, vcc
	v_cndmask_b32_e32 v15, v15, v19, vcc
	ds_bpermute_b32 v21, v20, v16
	ds_bpermute_b32 v19, v20, v15
	s_waitcnt lgkmcnt(1)
	v_mov_b32_e32 v20, v21
	s_waitcnt lgkmcnt(0)
	v_cmp_lt_f64_e32 vcc, v[15:16], v[19:20]
	v_cndmask_b32_e32 v16, v16, v21, vcc
	v_cndmask_b32_e32 v15, v15, v19, vcc
.LBB5_21:
	s_or_b64 exec, exec, s[52:53]
	s_barrier
.LBB5_22:
	s_mul_i32 s0, s10, s2
	s_mul_i32 s1, s11, s10
	s_add_i32 s0, s0, s6
	s_mul_i32 s7, s1, s8
	s_add_i32 s0, s0, s7
	s_waitcnt lgkmcnt(0)
	s_mul_i32 s7, s3, s1
	s_ashr_i32 s1, s0, 31
	s_lshr_b32 s1, s1, 27
	s_add_i32 s9, s0, s1
	s_and_b32 s1, s9, 0xffffffe0
	s_sub_i32 s52, s0, s1
	s_ashr_i32 s0, s7, 31
	s_lshr_b32 s0, s0, 27
	s_add_i32 s0, s7, s0
	s_ashr_i32 s3, s0, 5
	s_andn2_b32 s0, s0, 31
	s_sub_i32 s0, s7, s0
	s_cmp_lt_i32 s52, s0
	s_cselect_b64 s[0:1], -1, 0
	s_cmp_lg_u64 s[0:1], 0
	s_addc_u32 s3, s3, 0
	s_cmp_gt_u32 s3, 1
	v_cmp_eq_u32_e64 s[0:1], 0, v24
	s_cbranch_scc0 .LBB5_43
; %bb.23:
	s_add_i32 s7, s7, 31
	s_ashr_i32 s10, s7, 31
	s_lshr_b32 s10, s10, 27
	s_add_i32 s7, s7, s10
	s_ashr_i32 s7, s7, 5
	s_mul_i32 s7, s7, s52
	s_and_saveexec_b64 s[10:11], s[0:1]
	s_cbranch_execz .LBB5_25
; %bb.24:
	s_ashr_i32 s9, s9, 5
	s_add_i32 s82, s7, s9
	s_ashr_i32 s83, s82, 31
	s_lshl_b32 s80, s52, 3
	s_lshl_b64 s[82:83], s[82:83], 3
	s_add_u32 s82, s76, s82
	s_addc_u32 s83, s77, s83
	s_ashr_i32 s81, s80, 31
	s_lshl_b64 s[80:81], s[80:81], 2
	v_mov_b32_e32 v19, s82
	s_add_u32 s58, s58, s80
	v_mov_b32_e32 v20, s83
	s_addc_u32 s59, s59, s81
	s_add_i32 s9, s3, -1
	flat_store_dwordx2 v[19:20], v[15:16]
	v_mov_b32_e32 v19, 0
	v_mov_b32_e32 v20, s9
	s_waitcnt vmcnt(0) lgkmcnt(0)
	global_atomic_inc v20, v19, v20, s[58:59] glc
	s_waitcnt vmcnt(0)
	v_cmp_eq_u32_e32 vcc, s9, v20
	v_cndmask_b32_e64 v20, 0, 1, vcc
	ds_write_b8 v19, v20 offset:384
.LBB5_25:
	s_or_b64 exec, exec, s[10:11]
	v_mov_b32_e32 v19, 0
	s_waitcnt lgkmcnt(0)
	s_barrier
	ds_read_u8 v19, v19 offset:384
	s_mov_b64 s[10:11], 0
	s_waitcnt lgkmcnt(0)
	v_and_b32_e32 v19, 1, v19
	v_cmp_eq_u32_e32 vcc, 0, v19
	v_mov_b32_e32 v20, v14
	v_mov_b32_e32 v19, v13
	s_cbranch_vccnz .LBB5_42
; %bb.26:
	v_mov_b32_e32 v19, s56
	v_cmp_gt_u32_e32 vcc, s3, v24
	v_mov_b32_e32 v20, s57
	s_and_saveexec_b64 s[58:59], vcc
	s_cbranch_execz .LBB5_30
; %bb.27:
	v_mov_b32_e32 v19, s56
	s_mov_b64 s[80:81], 0
	v_mov_b32_e32 v20, s57
	v_mov_b32_e32 v22, 0
	;; [unrolled: 1-line block ×4, first 2 shown]
.LBB5_28:                               ; =>This Inner Loop Header: Depth=1
	v_add_u32_e32 v21, s7, v28
	v_lshlrev_b64 v[29:30], 3, v[21:22]
	v_add_u32_e32 v28, s24, v28
	v_add_co_u32_e32 v29, vcc, s76, v29
	v_addc_co_u32_e32 v30, vcc, v27, v30, vcc
	flat_load_dwordx2 v[29:30], v[29:30] glc
	v_cmp_le_u32_e64 s[10:11], s3, v28
	s_or_b64 s[80:81], s[10:11], s[80:81]
	s_waitcnt vmcnt(0) lgkmcnt(0)
	v_cmp_lt_f64_e32 vcc, v[19:20], v[29:30]
	v_cndmask_b32_e32 v20, v20, v30, vcc
	v_cndmask_b32_e32 v19, v19, v29, vcc
	s_andn2_b64 exec, exec, s[80:81]
	s_cbranch_execnz .LBB5_28
; %bb.29:
	s_or_b64 exec, exec, s[80:81]
.LBB5_30:
	s_or_b64 exec, exec, s[58:59]
	s_andn2_b64 vcc, exec, s[60:61]
	s_cbranch_vccnz .LBB5_238
; %bb.31:
	v_and_b32_e32 v29, 64, v23
	v_xor_b32_e32 v27, 1, v24
	v_and_or_b32 v21, v27, 63, v29
	v_lshlrev_b32_e32 v21, 2, v21
	ds_bpermute_b32 v28, v21, v20
	ds_bpermute_b32 v21, v21, v19
	v_xor_b32_e32 v30, 2, v24
	v_cmp_gt_i32_e64 s[10:11], s24, v27
	v_xor_b32_e32 v32, 4, v24
	s_waitcnt lgkmcnt(1)
	v_mov_b32_e32 v22, v28
	s_waitcnt lgkmcnt(0)
	v_cmp_lt_f64_e32 vcc, v[19:20], v[21:22]
	v_and_or_b32 v22, v30, 63, v29
	v_lshlrev_b32_e32 v27, 2, v22
	s_and_b64 vcc, s[10:11], vcc
	v_cndmask_b32_e32 v22, v20, v28, vcc
	v_cndmask_b32_e32 v21, v19, v21, vcc
	ds_bpermute_b32 v31, v27, v22
	ds_bpermute_b32 v27, v27, v21
	v_cmp_gt_i32_e64 s[10:11], s24, v30
	s_waitcnt lgkmcnt(1)
	v_mov_b32_e32 v28, v31
	s_waitcnt lgkmcnt(0)
	v_cmp_lt_f64_e32 vcc, v[21:22], v[27:28]
	v_and_or_b32 v28, v32, 63, v29
	v_lshlrev_b32_e32 v28, 2, v28
	s_and_b64 vcc, s[10:11], vcc
	v_cndmask_b32_e32 v22, v22, v31, vcc
	v_cndmask_b32_e32 v21, v21, v27, vcc
	ds_bpermute_b32 v30, v28, v22
	ds_bpermute_b32 v27, v28, v21
	v_xor_b32_e32 v31, 8, v24
	v_cmp_gt_i32_e64 s[10:11], s24, v32
	v_xor_b32_e32 v32, 16, v24
	s_waitcnt lgkmcnt(1)
	v_mov_b32_e32 v28, v30
	s_waitcnt lgkmcnt(0)
	v_cmp_lt_f64_e32 vcc, v[21:22], v[27:28]
	v_and_or_b32 v28, v31, 63, v29
	v_lshlrev_b32_e32 v28, 2, v28
	s_and_b64 vcc, s[10:11], vcc
	v_cndmask_b32_e32 v22, v22, v30, vcc
	v_cndmask_b32_e32 v21, v21, v27, vcc
	ds_bpermute_b32 v30, v28, v22
	ds_bpermute_b32 v27, v28, v21
	v_cmp_gt_i32_e64 s[10:11], s24, v31
	v_xor_b32_e32 v31, 32, v24
	s_waitcnt lgkmcnt(1)
	v_mov_b32_e32 v28, v30
	s_waitcnt lgkmcnt(0)
	v_cmp_lt_f64_e32 vcc, v[21:22], v[27:28]
	v_and_or_b32 v28, v32, 63, v29
	v_lshlrev_b32_e32 v28, 2, v28
	s_and_b64 vcc, s[10:11], vcc
	v_cndmask_b32_e32 v22, v22, v30, vcc
	v_cndmask_b32_e32 v21, v21, v27, vcc
	ds_bpermute_b32 v30, v28, v22
	ds_bpermute_b32 v27, v28, v21
	v_cmp_gt_i32_e64 s[10:11], s24, v32
	s_waitcnt lgkmcnt(1)
	v_mov_b32_e32 v28, v30
	s_waitcnt lgkmcnt(0)
	v_cmp_lt_f64_e32 vcc, v[21:22], v[27:28]
	v_and_or_b32 v28, v31, 63, v29
	v_lshlrev_b32_e32 v28, 2, v28
	s_and_b64 vcc, s[10:11], vcc
	v_cndmask_b32_e32 v22, v22, v30, vcc
	v_cndmask_b32_e32 v21, v21, v27, vcc
	ds_bpermute_b32 v29, v28, v22
	ds_bpermute_b32 v27, v28, v21
	v_cmp_gt_i32_e64 s[10:11], s24, v31
	s_waitcnt lgkmcnt(1)
	v_mov_b32_e32 v28, v29
	s_waitcnt lgkmcnt(0)
	v_cmp_lt_f64_e32 vcc, v[21:22], v[27:28]
	s_and_b64 vcc, s[10:11], vcc
	v_cndmask_b32_e32 v22, v22, v29, vcc
	v_cndmask_b32_e32 v21, v21, v27, vcc
	s_cbranch_execnz .LBB5_33
.LBB5_32:
	v_and_b32_e32 v21, 64, v23
	v_add_u32_e32 v27, 64, v21
	v_xor_b32_e32 v21, 1, v23
	v_cmp_lt_i32_e32 vcc, v21, v27
	v_cndmask_b32_e32 v21, v23, v21, vcc
	v_lshlrev_b32_e32 v21, 2, v21
	ds_bpermute_b32 v28, v21, v20
	ds_bpermute_b32 v21, v21, v19
	s_waitcnt lgkmcnt(1)
	v_mov_b32_e32 v22, v28
	s_waitcnt lgkmcnt(0)
	v_cmp_lt_f64_e32 vcc, v[19:20], v[21:22]
	v_xor_b32_e32 v22, 2, v23
	v_cmp_lt_i32_e64 s[10:11], v22, v27
	v_cndmask_b32_e64 v22, v23, v22, s[10:11]
	v_lshlrev_b32_e32 v22, 2, v22
	v_cndmask_b32_e32 v20, v20, v28, vcc
	ds_bpermute_b32 v28, v22, v20
	v_cndmask_b32_e32 v19, v19, v21, vcc
	ds_bpermute_b32 v21, v22, v19
	s_waitcnt lgkmcnt(1)
	v_mov_b32_e32 v22, v28
	s_waitcnt lgkmcnt(0)
	v_cmp_lt_f64_e32 vcc, v[19:20], v[21:22]
	v_xor_b32_e32 v22, 4, v23
	v_cmp_lt_i32_e64 s[10:11], v22, v27
	v_cndmask_b32_e64 v22, v23, v22, s[10:11]
	v_lshlrev_b32_e32 v22, 2, v22
	v_cndmask_b32_e32 v20, v20, v28, vcc
	ds_bpermute_b32 v28, v22, v20
	v_cndmask_b32_e32 v19, v19, v21, vcc
	;; [unrolled: 12-line block ×4, first 2 shown]
	ds_bpermute_b32 v21, v22, v19
	s_waitcnt lgkmcnt(1)
	v_mov_b32_e32 v22, v28
	s_waitcnt lgkmcnt(0)
	v_cmp_lt_f64_e32 vcc, v[19:20], v[21:22]
	v_xor_b32_e32 v22, 32, v23
	v_cmp_lt_i32_e64 s[10:11], v22, v27
	v_cndmask_b32_e64 v22, v23, v22, s[10:11]
	v_lshlrev_b32_e32 v22, 2, v22
	v_cndmask_b32_e32 v20, v20, v28, vcc
	v_cndmask_b32_e32 v19, v19, v21, vcc
	ds_bpermute_b32 v27, v22, v20
	ds_bpermute_b32 v21, v22, v19
	s_waitcnt lgkmcnt(1)
	v_mov_b32_e32 v22, v27
	s_waitcnt lgkmcnt(0)
	v_cmp_lt_f64_e32 vcc, v[19:20], v[21:22]
	v_cndmask_b32_e32 v22, v20, v27, vcc
	v_cndmask_b32_e32 v21, v19, v21, vcc
.LBB5_33:
	s_andn2_b64 vcc, exec, s[78:79]
	s_cbranch_vccnz .LBB5_41
; %bb.34:
	v_cmp_eq_u32_e32 vcc, 0, v17
	s_and_saveexec_b64 s[10:11], vcc
; %bb.35:
	v_lshlrev_b32_e32 v19, 3, v26
	ds_write_b64 v19, v[21:22]
; %bb.36:
	s_or_b64 exec, exec, s[10:11]
	v_add_co_u32_e32 v19, vcc, 63, v24
	v_addc_co_u32_e32 v20, vcc, 0, v25, vcc
	s_mov_b64 s[10:11], 0x7f
	v_cmp_gt_u64_e32 vcc, s[10:11], v[19:20]
	s_waitcnt lgkmcnt(0)
	s_barrier
	s_and_saveexec_b64 s[58:59], vcc
	s_cbranch_execz .LBB5_40
; %bb.37:
	v_lshlrev_b64 v[18:19], 6, v[17:18]
	v_cmp_gt_i64_e32 vcc, s[24:25], v[18:19]
	v_mov_b32_e32 v18, s56
	v_mov_b32_e32 v19, s57
	s_and_saveexec_b64 s[10:11], vcc
; %bb.38:
	v_lshlrev_b32_e32 v17, 3, v17
	ds_read_b64 v[18:19], v17
; %bb.39:
	s_or_b64 exec, exec, s[10:11]
	v_and_b32_e32 v17, 64, v23
	v_add_u32_e32 v17, 64, v17
	v_xor_b32_e32 v20, 1, v23
	v_cmp_lt_i32_e32 vcc, v20, v17
	v_cndmask_b32_e32 v20, v23, v20, vcc
	v_lshlrev_b32_e32 v20, 2, v20
	s_waitcnt lgkmcnt(0)
	ds_bpermute_b32 v22, v20, v19
	ds_bpermute_b32 v20, v20, v18
	s_waitcnt lgkmcnt(1)
	v_mov_b32_e32 v21, v22
	s_waitcnt lgkmcnt(0)
	v_cmp_lt_f64_e32 vcc, v[18:19], v[20:21]
	v_xor_b32_e32 v21, 2, v23
	v_cmp_lt_i32_e64 s[10:11], v21, v17
	v_cndmask_b32_e64 v21, v23, v21, s[10:11]
	v_lshlrev_b32_e32 v21, 2, v21
	v_cndmask_b32_e32 v19, v19, v22, vcc
	ds_bpermute_b32 v22, v21, v19
	v_cndmask_b32_e32 v18, v18, v20, vcc
	ds_bpermute_b32 v20, v21, v18
	s_waitcnt lgkmcnt(1)
	v_mov_b32_e32 v21, v22
	s_waitcnt lgkmcnt(0)
	v_cmp_lt_f64_e32 vcc, v[18:19], v[20:21]
	v_xor_b32_e32 v21, 4, v23
	v_cmp_lt_i32_e64 s[10:11], v21, v17
	v_cndmask_b32_e64 v21, v23, v21, s[10:11]
	v_lshlrev_b32_e32 v21, 2, v21
	v_cndmask_b32_e32 v19, v19, v22, vcc
	ds_bpermute_b32 v22, v21, v19
	v_cndmask_b32_e32 v18, v18, v20, vcc
	ds_bpermute_b32 v20, v21, v18
	s_waitcnt lgkmcnt(1)
	v_mov_b32_e32 v21, v22
	s_waitcnt lgkmcnt(0)
	v_cmp_lt_f64_e32 vcc, v[18:19], v[20:21]
	v_xor_b32_e32 v21, 8, v23
	v_cmp_lt_i32_e64 s[10:11], v21, v17
	v_cndmask_b32_e64 v17, v23, v21, s[10:11]
	v_lshlrev_b32_e32 v17, 2, v17
	v_cndmask_b32_e32 v19, v19, v22, vcc
	v_cndmask_b32_e32 v18, v18, v20, vcc
	ds_bpermute_b32 v22, v17, v19
	ds_bpermute_b32 v20, v17, v18
	s_waitcnt lgkmcnt(1)
	v_mov_b32_e32 v21, v22
	s_waitcnt lgkmcnt(0)
	v_cmp_lt_f64_e32 vcc, v[18:19], v[20:21]
	v_cndmask_b32_e32 v22, v19, v22, vcc
	v_cndmask_b32_e32 v21, v18, v20, vcc
.LBB5_40:
	s_or_b64 exec, exec, s[58:59]
	s_barrier
.LBB5_41:
	v_mov_b32_e32 v17, 0
	ds_read_u8 v17, v17 offset:384
	v_cndmask_b32_e64 v20, v14, v22, s[0:1]
	v_cndmask_b32_e64 v19, v13, v21, s[0:1]
	s_waitcnt lgkmcnt(0)
	v_and_b32_e32 v17, 1, v17
	v_cmp_eq_u32_e64 s[10:11], 1, v17
.LBB5_42:
	s_and_b64 s[10:11], s[0:1], s[10:11]
	s_branch .LBB5_45
.LBB5_43:
                                        ; implicit-def: $sgpr10_sgpr11
                                        ; implicit-def: $vgpr19_vgpr20
	s_cbranch_execz .LBB5_45
; %bb.44:
	v_cndmask_b32_e64 v20, v14, v16, s[0:1]
	v_cndmask_b32_e64 v19, v13, v15, s[0:1]
	s_andn2_b64 s[10:11], s[10:11], exec
	s_and_b64 s[0:1], s[0:1], exec
	s_or_b64 s[10:11], s[10:11], s[0:1]
.LBB5_45:
	s_and_saveexec_b64 s[0:1], s[10:11]
	s_cbranch_execz .LBB5_47
; %bb.46:
	s_ashr_i32 s53, s52, 31
	s_lshl_b64 s[10:11], s[52:53], 3
	s_add_u32 s10, s62, s10
	s_addc_u32 s11, s63, s11
	v_mov_b32_e32 v14, s11
	v_mov_b32_e32 v13, s10
	flat_store_dwordx2 v[13:14], v[19:20]
.LBB5_47:
	s_or_b64 exec, exec, s[0:1]
	s_cmp_lg_u64 s[54:55], 0
	s_cbranch_scc1 .LBB5_6
.LBB5_48:
	s_load_dwordx2 s[10:11], s[4:5], 0x178
	s_add_u32 s0, s4, 0x178
	v_mov_b32_e32 v13, 0
	s_addc_u32 s1, s5, 0
	global_load_dword v14, v13, s[4:5] offset:390
	s_waitcnt lgkmcnt(0)
	s_cmp_lt_u32 s6, s10
	s_cselect_b32 s3, 12, 18
	s_add_u32 s0, s0, s3
	s_addc_u32 s1, s1, 0
	global_load_ushort v13, v13, s[0:1]
	v_mbcnt_lo_u32_b32 v15, -1, 0
	v_mbcnt_hi_u32_b32 v21, -1, v15
	s_waitcnt vmcnt(0)
	v_readfirstlane_b32 s0, v14
	s_lshr_b32 s1, s0, 16
	s_and_b32 s0, s0, 0xffff
	v_readfirstlane_b32 s3, v13
	s_mul_i32 s0, s0, s3
	v_mul_u32_u24_e32 v14, v1, v13
	v_mul_lo_u32 v13, s0, v2
	s_mul_i32 s24, s0, s1
	s_ashr_i32 s25, s24, 31
	s_and_b32 s0, s24, 63
	s_cmp_lg_u32 s0, 0
	s_cselect_b64 s[54:55], -1, 0
	s_cmp_eq_u32 s0, 0
	v_add3_u32 v22, v14, v0, v13
	s_cbranch_scc1 .LBB5_233
; %bb.49:
	v_and_b32_e32 v17, 64, v21
	v_xor_b32_e32 v15, 1, v22
	v_and_or_b32 v13, v15, 63, v17
	v_lshlrev_b32_e32 v13, 2, v13
	ds_bpermute_b32 v16, v13, v12
	ds_bpermute_b32 v13, v13, v11
	v_xor_b32_e32 v18, 2, v22
	v_cmp_gt_i32_e64 s[0:1], s24, v15
	v_xor_b32_e32 v20, 4, v22
	s_waitcnt lgkmcnt(1)
	v_mov_b32_e32 v14, v16
	s_waitcnt lgkmcnt(0)
	v_cmp_gt_f64_e32 vcc, v[11:12], v[13:14]
	v_and_or_b32 v14, v18, 63, v17
	v_lshlrev_b32_e32 v15, 2, v14
	s_and_b64 vcc, s[0:1], vcc
	v_cndmask_b32_e32 v14, v12, v16, vcc
	v_cndmask_b32_e32 v13, v11, v13, vcc
	ds_bpermute_b32 v19, v15, v14
	ds_bpermute_b32 v15, v15, v13
	v_cmp_gt_i32_e64 s[0:1], s24, v18
	s_waitcnt lgkmcnt(1)
	v_mov_b32_e32 v16, v19
	s_waitcnt lgkmcnt(0)
	v_cmp_gt_f64_e32 vcc, v[13:14], v[15:16]
	v_and_or_b32 v16, v20, 63, v17
	v_lshlrev_b32_e32 v16, 2, v16
	s_and_b64 vcc, s[0:1], vcc
	v_cndmask_b32_e32 v14, v14, v19, vcc
	v_cndmask_b32_e32 v13, v13, v15, vcc
	ds_bpermute_b32 v18, v16, v14
	ds_bpermute_b32 v15, v16, v13
	v_xor_b32_e32 v19, 8, v22
	v_cmp_gt_i32_e64 s[0:1], s24, v20
	v_xor_b32_e32 v20, 16, v22
	s_waitcnt lgkmcnt(1)
	v_mov_b32_e32 v16, v18
	s_waitcnt lgkmcnt(0)
	v_cmp_gt_f64_e32 vcc, v[13:14], v[15:16]
	v_and_or_b32 v16, v19, 63, v17
	v_lshlrev_b32_e32 v16, 2, v16
	s_and_b64 vcc, s[0:1], vcc
	v_cndmask_b32_e32 v14, v14, v18, vcc
	v_cndmask_b32_e32 v13, v13, v15, vcc
	ds_bpermute_b32 v18, v16, v14
	ds_bpermute_b32 v15, v16, v13
	v_cmp_gt_i32_e64 s[0:1], s24, v19
	v_xor_b32_e32 v19, 32, v22
	s_waitcnt lgkmcnt(1)
	v_mov_b32_e32 v16, v18
	s_waitcnt lgkmcnt(0)
	v_cmp_gt_f64_e32 vcc, v[13:14], v[15:16]
	v_and_or_b32 v16, v20, 63, v17
	v_lshlrev_b32_e32 v16, 2, v16
	s_and_b64 vcc, s[0:1], vcc
	v_cndmask_b32_e32 v14, v14, v18, vcc
	v_cndmask_b32_e32 v13, v13, v15, vcc
	ds_bpermute_b32 v18, v16, v14
	ds_bpermute_b32 v15, v16, v13
	v_cmp_gt_i32_e64 s[0:1], s24, v20
	s_waitcnt lgkmcnt(1)
	v_mov_b32_e32 v16, v18
	s_waitcnt lgkmcnt(0)
	v_cmp_gt_f64_e32 vcc, v[13:14], v[15:16]
	v_and_or_b32 v16, v19, 63, v17
	v_lshlrev_b32_e32 v16, 2, v16
	s_and_b64 vcc, s[0:1], vcc
	v_cndmask_b32_e32 v14, v14, v18, vcc
	v_cndmask_b32_e32 v13, v13, v15, vcc
	ds_bpermute_b32 v17, v16, v14
	ds_bpermute_b32 v15, v16, v13
	v_cmp_gt_i32_e64 s[0:1], s24, v19
	s_waitcnt lgkmcnt(1)
	v_mov_b32_e32 v16, v17
	s_waitcnt lgkmcnt(0)
	v_cmp_gt_f64_e32 vcc, v[13:14], v[15:16]
	s_and_b64 vcc, s[0:1], vcc
	v_cndmask_b32_e32 v14, v14, v17, vcc
	v_cndmask_b32_e32 v13, v13, v15, vcc
	s_cbranch_execnz .LBB5_51
.LBB5_50:
	v_and_b32_e32 v13, 64, v21
	v_add_u32_e32 v17, 64, v13
	v_xor_b32_e32 v13, 1, v21
	v_cmp_lt_i32_e32 vcc, v13, v17
	v_cndmask_b32_e32 v13, v21, v13, vcc
	v_lshlrev_b32_e32 v13, 2, v13
	ds_bpermute_b32 v15, v13, v12
	ds_bpermute_b32 v13, v13, v11
	s_waitcnt lgkmcnt(1)
	v_mov_b32_e32 v14, v15
	s_waitcnt lgkmcnt(0)
	v_cmp_gt_f64_e32 vcc, v[11:12], v[13:14]
	v_xor_b32_e32 v14, 2, v21
	v_cmp_lt_i32_e64 s[0:1], v14, v17
	v_cndmask_b32_e64 v14, v21, v14, s[0:1]
	v_lshlrev_b32_e32 v16, 2, v14
	v_cndmask_b32_e32 v14, v12, v15, vcc
	ds_bpermute_b32 v18, v16, v14
	v_cndmask_b32_e32 v13, v11, v13, vcc
	ds_bpermute_b32 v15, v16, v13
	s_waitcnt lgkmcnt(1)
	v_mov_b32_e32 v16, v18
	s_waitcnt lgkmcnt(0)
	v_cmp_gt_f64_e32 vcc, v[13:14], v[15:16]
	v_xor_b32_e32 v16, 4, v21
	v_cmp_lt_i32_e64 s[0:1], v16, v17
	v_cndmask_b32_e64 v16, v21, v16, s[0:1]
	v_lshlrev_b32_e32 v16, 2, v16
	v_cndmask_b32_e32 v14, v14, v18, vcc
	ds_bpermute_b32 v18, v16, v14
	v_cndmask_b32_e32 v13, v13, v15, vcc
	;; [unrolled: 12-line block ×4, first 2 shown]
	ds_bpermute_b32 v15, v16, v13
	s_waitcnt lgkmcnt(1)
	v_mov_b32_e32 v16, v18
	s_waitcnt lgkmcnt(0)
	v_cmp_gt_f64_e32 vcc, v[13:14], v[15:16]
	v_xor_b32_e32 v16, 32, v21
	v_cmp_lt_i32_e64 s[0:1], v16, v17
	v_cndmask_b32_e64 v16, v21, v16, s[0:1]
	v_lshlrev_b32_e32 v16, 2, v16
	v_cndmask_b32_e32 v14, v14, v18, vcc
	v_cndmask_b32_e32 v13, v13, v15, vcc
	ds_bpermute_b32 v17, v16, v14
	ds_bpermute_b32 v15, v16, v13
	s_waitcnt lgkmcnt(1)
	v_mov_b32_e32 v16, v17
	s_waitcnt lgkmcnt(0)
	v_cmp_gt_f64_e32 vcc, v[13:14], v[15:16]
	v_cndmask_b32_e32 v14, v14, v17, vcc
	v_cndmask_b32_e32 v13, v13, v15, vcc
.LBB5_51:
	v_ashrrev_i32_e32 v23, 31, v22
	s_load_dword s3, s[4:5], 0x180
	v_lshrrev_b32_e32 v15, 26, v23
	v_add_u32_e32 v15, v22, v15
	v_ashrrev_i32_e32 v24, 6, v15
	v_and_b32_e32 v15, 0xffffffc0, v15
	v_sub_u32_e32 v15, v22, v15
	s_cmp_gt_i32 s24, 64
	s_cselect_b64 s[56:57], -1, 0
	s_cmpk_lt_i32 s24, 0x41
	v_ashrrev_i32_e32 v16, 31, v15
	s_cbranch_scc1 .LBB5_59
; %bb.52:
	v_cmp_eq_u32_e32 vcc, 0, v15
	s_and_saveexec_b64 s[0:1], vcc
; %bb.53:
	v_lshlrev_b32_e32 v17, 3, v24
	ds_write_b64 v17, v[13:14] offset:128
; %bb.54:
	s_or_b64 exec, exec, s[0:1]
	v_add_co_u32_e32 v17, vcc, 63, v22
	v_addc_co_u32_e32 v18, vcc, 0, v23, vcc
	s_mov_b64 s[0:1], 0x7f
	v_cmp_gt_u64_e32 vcc, s[0:1], v[17:18]
	s_waitcnt lgkmcnt(0)
	s_barrier
	s_and_saveexec_b64 s[52:53], vcc
	s_cbranch_execz .LBB5_58
; %bb.55:
	v_lshlrev_b64 v[13:14], 6, v[15:16]
	v_cmp_gt_i64_e32 vcc, s[24:25], v[13:14]
	v_mov_b32_e32 v13, s48
	v_mov_b32_e32 v14, s49
	s_and_saveexec_b64 s[0:1], vcc
; %bb.56:
	v_lshlrev_b32_e32 v13, 3, v15
	ds_read_b64 v[13:14], v13 offset:128
; %bb.57:
	s_or_b64 exec, exec, s[0:1]
	v_and_b32_e32 v17, 64, v21
	v_add_u32_e32 v19, 64, v17
	v_xor_b32_e32 v17, 1, v21
	v_cmp_lt_i32_e32 vcc, v17, v19
	v_cndmask_b32_e32 v17, v21, v17, vcc
	v_lshlrev_b32_e32 v17, 2, v17
	s_waitcnt lgkmcnt(0)
	ds_bpermute_b32 v20, v17, v14
	ds_bpermute_b32 v17, v17, v13
	s_waitcnt lgkmcnt(1)
	v_mov_b32_e32 v18, v20
	s_waitcnt lgkmcnt(0)
	v_cmp_gt_f64_e32 vcc, v[13:14], v[17:18]
	v_xor_b32_e32 v18, 2, v21
	v_cmp_lt_i32_e64 s[0:1], v18, v19
	v_cndmask_b32_e64 v18, v21, v18, s[0:1]
	v_lshlrev_b32_e32 v18, 2, v18
	v_cndmask_b32_e32 v14, v14, v20, vcc
	ds_bpermute_b32 v20, v18, v14
	v_cndmask_b32_e32 v13, v13, v17, vcc
	ds_bpermute_b32 v17, v18, v13
	s_waitcnt lgkmcnt(1)
	v_mov_b32_e32 v18, v20
	s_waitcnt lgkmcnt(0)
	v_cmp_gt_f64_e32 vcc, v[13:14], v[17:18]
	v_xor_b32_e32 v18, 4, v21
	v_cmp_lt_i32_e64 s[0:1], v18, v19
	v_cndmask_b32_e64 v18, v21, v18, s[0:1]
	v_lshlrev_b32_e32 v18, 2, v18
	v_cndmask_b32_e32 v14, v14, v20, vcc
	ds_bpermute_b32 v20, v18, v14
	v_cndmask_b32_e32 v13, v13, v17, vcc
	ds_bpermute_b32 v17, v18, v13
	s_waitcnt lgkmcnt(1)
	v_mov_b32_e32 v18, v20
	s_waitcnt lgkmcnt(0)
	v_cmp_gt_f64_e32 vcc, v[13:14], v[17:18]
	v_xor_b32_e32 v18, 8, v21
	v_cmp_lt_i32_e64 s[0:1], v18, v19
	v_cndmask_b32_e64 v18, v21, v18, s[0:1]
	v_lshlrev_b32_e32 v18, 2, v18
	v_cndmask_b32_e32 v14, v14, v20, vcc
	v_cndmask_b32_e32 v13, v13, v17, vcc
	ds_bpermute_b32 v19, v18, v14
	ds_bpermute_b32 v17, v18, v13
	s_waitcnt lgkmcnt(1)
	v_mov_b32_e32 v18, v19
	s_waitcnt lgkmcnt(0)
	v_cmp_gt_f64_e32 vcc, v[13:14], v[17:18]
	v_cndmask_b32_e32 v14, v14, v19, vcc
	v_cndmask_b32_e32 v13, v13, v17, vcc
.LBB5_58:
	s_or_b64 exec, exec, s[52:53]
	s_barrier
.LBB5_59:
	s_mul_i32 s0, s10, s2
	s_mul_i32 s1, s11, s10
	s_add_i32 s0, s0, s6
	s_mul_i32 s7, s1, s8
	s_add_i32 s0, s0, s7
	s_waitcnt lgkmcnt(0)
	s_mul_i32 s7, s3, s1
	s_ashr_i32 s1, s0, 31
	s_lshr_b32 s1, s1, 27
	s_add_i32 s9, s0, s1
	s_and_b32 s1, s9, 0xffffffe0
	s_sub_i32 s52, s0, s1
	s_ashr_i32 s0, s7, 31
	s_lshr_b32 s0, s0, 27
	s_add_i32 s0, s7, s0
	s_ashr_i32 s3, s0, 5
	s_andn2_b32 s0, s0, 31
	s_sub_i32 s0, s7, s0
	s_cmp_lt_i32 s52, s0
	s_cselect_b64 s[0:1], -1, 0
	s_cmp_lg_u64 s[0:1], 0
	s_addc_u32 s3, s3, 0
	s_cmp_gt_u32 s3, 1
	v_cmp_eq_u32_e64 s[0:1], 0, v22
	s_cbranch_scc0 .LBB5_80
; %bb.60:
	s_add_i32 s7, s7, 31
	s_ashr_i32 s10, s7, 31
	s_lshr_b32 s10, s10, 27
	s_add_i32 s7, s7, s10
	s_ashr_i32 s7, s7, 5
	s_mul_i32 s7, s7, s52
	s_and_saveexec_b64 s[10:11], s[0:1]
	s_cbranch_execz .LBB5_62
; %bb.61:
	s_ashr_i32 s9, s9, 5
	s_add_i32 s60, s7, s9
	s_ashr_i32 s61, s60, 31
	s_lshl_b32 s58, s52, 3
	s_lshl_b64 s[60:61], s[60:61], 3
	s_add_u32 s60, s74, s60
	s_addc_u32 s61, s75, s61
	s_ashr_i32 s59, s58, 31
	s_lshl_b64 s[58:59], s[58:59], 2
	v_mov_b32_e32 v17, s60
	s_add_u32 s50, s50, s58
	v_mov_b32_e32 v18, s61
	s_addc_u32 s51, s51, s59
	s_add_i32 s9, s3, -1
	flat_store_dwordx2 v[17:18], v[13:14]
	v_mov_b32_e32 v17, 0
	v_mov_b32_e32 v18, s9
	s_waitcnt vmcnt(0) lgkmcnt(0)
	global_atomic_inc v18, v17, v18, s[50:51] glc
	s_waitcnt vmcnt(0)
	v_cmp_eq_u32_e32 vcc, s9, v18
	v_cndmask_b32_e64 v18, 0, 1, vcc
	ds_write_b8 v17, v18 offset:385
.LBB5_62:
	s_or_b64 exec, exec, s[10:11]
	v_mov_b32_e32 v17, 0
	s_waitcnt lgkmcnt(0)
	s_barrier
	ds_read_u8 v17, v17 offset:385
	s_mov_b64 s[10:11], 0
	s_waitcnt lgkmcnt(0)
	v_cmp_eq_u32_e32 vcc, 0, v17
	v_mov_b32_e32 v18, v12
	v_mov_b32_e32 v17, v11
	s_cbranch_vccnz .LBB5_79
; %bb.63:
	v_mov_b32_e32 v17, s48
	v_cmp_gt_u32_e32 vcc, s3, v22
	v_mov_b32_e32 v18, s49
	s_and_saveexec_b64 s[50:51], vcc
	s_cbranch_execz .LBB5_67
; %bb.64:
	v_mov_b32_e32 v17, s48
	s_mov_b64 s[58:59], 0
	v_mov_b32_e32 v18, s49
	v_mov_b32_e32 v20, 0
	;; [unrolled: 1-line block ×4, first 2 shown]
.LBB5_65:                               ; =>This Inner Loop Header: Depth=1
	v_add_u32_e32 v19, s7, v26
	v_lshlrev_b64 v[27:28], 3, v[19:20]
	v_add_u32_e32 v26, s24, v26
	v_add_co_u32_e32 v27, vcc, s74, v27
	v_addc_co_u32_e32 v28, vcc, v25, v28, vcc
	flat_load_dwordx2 v[27:28], v[27:28] glc
	v_cmp_le_u32_e64 s[10:11], s3, v26
	s_or_b64 s[58:59], s[10:11], s[58:59]
	s_waitcnt vmcnt(0) lgkmcnt(0)
	v_cmp_gt_f64_e32 vcc, v[17:18], v[27:28]
	v_cndmask_b32_e32 v18, v18, v28, vcc
	v_cndmask_b32_e32 v17, v17, v27, vcc
	s_andn2_b64 exec, exec, s[58:59]
	s_cbranch_execnz .LBB5_65
; %bb.66:
	s_or_b64 exec, exec, s[58:59]
.LBB5_67:
	s_or_b64 exec, exec, s[50:51]
	s_andn2_b64 vcc, exec, s[54:55]
	s_cbranch_vccnz .LBB5_239
; %bb.68:
	v_and_b32_e32 v27, 64, v21
	v_xor_b32_e32 v25, 1, v22
	v_and_or_b32 v19, v25, 63, v27
	v_lshlrev_b32_e32 v19, 2, v19
	ds_bpermute_b32 v26, v19, v18
	ds_bpermute_b32 v19, v19, v17
	v_xor_b32_e32 v28, 2, v22
	v_cmp_gt_i32_e64 s[10:11], s24, v25
	v_xor_b32_e32 v30, 4, v22
	s_waitcnt lgkmcnt(1)
	v_mov_b32_e32 v20, v26
	s_waitcnt lgkmcnt(0)
	v_cmp_gt_f64_e32 vcc, v[17:18], v[19:20]
	v_and_or_b32 v20, v28, 63, v27
	v_lshlrev_b32_e32 v25, 2, v20
	s_and_b64 vcc, s[10:11], vcc
	v_cndmask_b32_e32 v20, v18, v26, vcc
	v_cndmask_b32_e32 v19, v17, v19, vcc
	ds_bpermute_b32 v29, v25, v20
	ds_bpermute_b32 v25, v25, v19
	v_cmp_gt_i32_e64 s[10:11], s24, v28
	s_waitcnt lgkmcnt(1)
	v_mov_b32_e32 v26, v29
	s_waitcnt lgkmcnt(0)
	v_cmp_gt_f64_e32 vcc, v[19:20], v[25:26]
	v_and_or_b32 v26, v30, 63, v27
	v_lshlrev_b32_e32 v26, 2, v26
	s_and_b64 vcc, s[10:11], vcc
	v_cndmask_b32_e32 v20, v20, v29, vcc
	v_cndmask_b32_e32 v19, v19, v25, vcc
	ds_bpermute_b32 v28, v26, v20
	ds_bpermute_b32 v25, v26, v19
	v_xor_b32_e32 v29, 8, v22
	v_cmp_gt_i32_e64 s[10:11], s24, v30
	v_xor_b32_e32 v30, 16, v22
	s_waitcnt lgkmcnt(1)
	v_mov_b32_e32 v26, v28
	s_waitcnt lgkmcnt(0)
	v_cmp_gt_f64_e32 vcc, v[19:20], v[25:26]
	v_and_or_b32 v26, v29, 63, v27
	v_lshlrev_b32_e32 v26, 2, v26
	s_and_b64 vcc, s[10:11], vcc
	v_cndmask_b32_e32 v20, v20, v28, vcc
	v_cndmask_b32_e32 v19, v19, v25, vcc
	ds_bpermute_b32 v28, v26, v20
	ds_bpermute_b32 v25, v26, v19
	v_cmp_gt_i32_e64 s[10:11], s24, v29
	v_xor_b32_e32 v29, 32, v22
	s_waitcnt lgkmcnt(1)
	v_mov_b32_e32 v26, v28
	s_waitcnt lgkmcnt(0)
	v_cmp_gt_f64_e32 vcc, v[19:20], v[25:26]
	v_and_or_b32 v26, v30, 63, v27
	v_lshlrev_b32_e32 v26, 2, v26
	s_and_b64 vcc, s[10:11], vcc
	v_cndmask_b32_e32 v20, v20, v28, vcc
	v_cndmask_b32_e32 v19, v19, v25, vcc
	ds_bpermute_b32 v28, v26, v20
	ds_bpermute_b32 v25, v26, v19
	v_cmp_gt_i32_e64 s[10:11], s24, v30
	s_waitcnt lgkmcnt(1)
	v_mov_b32_e32 v26, v28
	s_waitcnt lgkmcnt(0)
	v_cmp_gt_f64_e32 vcc, v[19:20], v[25:26]
	v_and_or_b32 v26, v29, 63, v27
	v_lshlrev_b32_e32 v26, 2, v26
	s_and_b64 vcc, s[10:11], vcc
	v_cndmask_b32_e32 v20, v20, v28, vcc
	v_cndmask_b32_e32 v19, v19, v25, vcc
	ds_bpermute_b32 v27, v26, v20
	ds_bpermute_b32 v25, v26, v19
	v_cmp_gt_i32_e64 s[10:11], s24, v29
	s_waitcnt lgkmcnt(1)
	v_mov_b32_e32 v26, v27
	s_waitcnt lgkmcnt(0)
	v_cmp_gt_f64_e32 vcc, v[19:20], v[25:26]
	s_and_b64 vcc, s[10:11], vcc
	v_cndmask_b32_e32 v20, v20, v27, vcc
	v_cndmask_b32_e32 v19, v19, v25, vcc
	s_cbranch_execnz .LBB5_70
.LBB5_69:
	v_and_b32_e32 v19, 64, v21
	v_add_u32_e32 v25, 64, v19
	v_xor_b32_e32 v19, 1, v21
	v_cmp_lt_i32_e32 vcc, v19, v25
	v_cndmask_b32_e32 v19, v21, v19, vcc
	v_lshlrev_b32_e32 v19, 2, v19
	ds_bpermute_b32 v26, v19, v18
	ds_bpermute_b32 v19, v19, v17
	s_waitcnt lgkmcnt(1)
	v_mov_b32_e32 v20, v26
	s_waitcnt lgkmcnt(0)
	v_cmp_gt_f64_e32 vcc, v[17:18], v[19:20]
	v_xor_b32_e32 v20, 2, v21
	v_cmp_lt_i32_e64 s[10:11], v20, v25
	v_cndmask_b32_e64 v20, v21, v20, s[10:11]
	v_lshlrev_b32_e32 v20, 2, v20
	v_cndmask_b32_e32 v18, v18, v26, vcc
	ds_bpermute_b32 v26, v20, v18
	v_cndmask_b32_e32 v17, v17, v19, vcc
	ds_bpermute_b32 v19, v20, v17
	s_waitcnt lgkmcnt(1)
	v_mov_b32_e32 v20, v26
	s_waitcnt lgkmcnt(0)
	v_cmp_gt_f64_e32 vcc, v[17:18], v[19:20]
	v_xor_b32_e32 v20, 4, v21
	v_cmp_lt_i32_e64 s[10:11], v20, v25
	v_cndmask_b32_e64 v20, v21, v20, s[10:11]
	v_lshlrev_b32_e32 v20, 2, v20
	v_cndmask_b32_e32 v18, v18, v26, vcc
	ds_bpermute_b32 v26, v20, v18
	v_cndmask_b32_e32 v17, v17, v19, vcc
	;; [unrolled: 12-line block ×4, first 2 shown]
	ds_bpermute_b32 v19, v20, v17
	s_waitcnt lgkmcnt(1)
	v_mov_b32_e32 v20, v26
	s_waitcnt lgkmcnt(0)
	v_cmp_gt_f64_e32 vcc, v[17:18], v[19:20]
	v_xor_b32_e32 v20, 32, v21
	v_cmp_lt_i32_e64 s[10:11], v20, v25
	v_cndmask_b32_e64 v20, v21, v20, s[10:11]
	v_lshlrev_b32_e32 v20, 2, v20
	v_cndmask_b32_e32 v18, v18, v26, vcc
	v_cndmask_b32_e32 v17, v17, v19, vcc
	ds_bpermute_b32 v25, v20, v18
	ds_bpermute_b32 v19, v20, v17
	s_waitcnt lgkmcnt(1)
	v_mov_b32_e32 v20, v25
	s_waitcnt lgkmcnt(0)
	v_cmp_gt_f64_e32 vcc, v[17:18], v[19:20]
	v_cndmask_b32_e32 v20, v18, v25, vcc
	v_cndmask_b32_e32 v19, v17, v19, vcc
.LBB5_70:
	s_andn2_b64 vcc, exec, s[56:57]
	s_cbranch_vccnz .LBB5_78
; %bb.71:
	v_cmp_eq_u32_e32 vcc, 0, v15
	s_and_saveexec_b64 s[10:11], vcc
; %bb.72:
	v_lshlrev_b32_e32 v17, 3, v24
	ds_write_b64 v17, v[19:20] offset:128
; %bb.73:
	s_or_b64 exec, exec, s[10:11]
	v_add_co_u32_e32 v17, vcc, 63, v22
	v_addc_co_u32_e32 v18, vcc, 0, v23, vcc
	s_mov_b64 s[10:11], 0x7f
	v_cmp_gt_u64_e32 vcc, s[10:11], v[17:18]
	s_waitcnt lgkmcnt(0)
	s_barrier
	s_and_saveexec_b64 s[50:51], vcc
	s_cbranch_execz .LBB5_77
; %bb.74:
	v_lshlrev_b64 v[16:17], 6, v[15:16]
	v_cmp_gt_i64_e32 vcc, s[24:25], v[16:17]
	v_mov_b32_e32 v16, s48
	v_mov_b32_e32 v17, s49
	s_and_saveexec_b64 s[10:11], vcc
; %bb.75:
	v_lshlrev_b32_e32 v15, 3, v15
	ds_read_b64 v[16:17], v15 offset:128
; %bb.76:
	s_or_b64 exec, exec, s[10:11]
	v_and_b32_e32 v15, 64, v21
	v_add_u32_e32 v15, 64, v15
	v_xor_b32_e32 v18, 1, v21
	v_cmp_lt_i32_e32 vcc, v18, v15
	v_cndmask_b32_e32 v18, v21, v18, vcc
	v_lshlrev_b32_e32 v18, 2, v18
	s_waitcnt lgkmcnt(0)
	ds_bpermute_b32 v20, v18, v17
	ds_bpermute_b32 v18, v18, v16
	s_waitcnt lgkmcnt(1)
	v_mov_b32_e32 v19, v20
	s_waitcnt lgkmcnt(0)
	v_cmp_gt_f64_e32 vcc, v[16:17], v[18:19]
	v_xor_b32_e32 v19, 2, v21
	v_cmp_lt_i32_e64 s[10:11], v19, v15
	v_cndmask_b32_e64 v19, v21, v19, s[10:11]
	v_lshlrev_b32_e32 v19, 2, v19
	v_cndmask_b32_e32 v17, v17, v20, vcc
	ds_bpermute_b32 v20, v19, v17
	v_cndmask_b32_e32 v16, v16, v18, vcc
	ds_bpermute_b32 v18, v19, v16
	s_waitcnt lgkmcnt(1)
	v_mov_b32_e32 v19, v20
	s_waitcnt lgkmcnt(0)
	v_cmp_gt_f64_e32 vcc, v[16:17], v[18:19]
	v_xor_b32_e32 v19, 4, v21
	v_cmp_lt_i32_e64 s[10:11], v19, v15
	v_cndmask_b32_e64 v19, v21, v19, s[10:11]
	v_lshlrev_b32_e32 v19, 2, v19
	v_cndmask_b32_e32 v17, v17, v20, vcc
	ds_bpermute_b32 v20, v19, v17
	v_cndmask_b32_e32 v16, v16, v18, vcc
	ds_bpermute_b32 v18, v19, v16
	s_waitcnt lgkmcnt(1)
	v_mov_b32_e32 v19, v20
	s_waitcnt lgkmcnt(0)
	v_cmp_gt_f64_e32 vcc, v[16:17], v[18:19]
	v_xor_b32_e32 v19, 8, v21
	v_cmp_lt_i32_e64 s[10:11], v19, v15
	v_cndmask_b32_e64 v15, v21, v19, s[10:11]
	v_lshlrev_b32_e32 v15, 2, v15
	v_cndmask_b32_e32 v17, v17, v20, vcc
	v_cndmask_b32_e32 v16, v16, v18, vcc
	ds_bpermute_b32 v20, v15, v17
	ds_bpermute_b32 v18, v15, v16
	s_waitcnt lgkmcnt(1)
	v_mov_b32_e32 v19, v20
	s_waitcnt lgkmcnt(0)
	v_cmp_gt_f64_e32 vcc, v[16:17], v[18:19]
	v_cndmask_b32_e32 v20, v17, v20, vcc
	v_cndmask_b32_e32 v19, v16, v18, vcc
.LBB5_77:
	s_or_b64 exec, exec, s[50:51]
	s_barrier
.LBB5_78:
	v_mov_b32_e32 v15, 0
	ds_read_u8 v15, v15 offset:385
	v_cndmask_b32_e64 v18, v12, v20, s[0:1]
	v_cndmask_b32_e64 v17, v11, v19, s[0:1]
	s_waitcnt lgkmcnt(0)
	v_and_b32_e32 v15, 1, v15
	v_cmp_eq_u32_e64 s[10:11], 1, v15
.LBB5_79:
	s_and_b64 s[10:11], s[0:1], s[10:11]
	s_branch .LBB5_82
.LBB5_80:
                                        ; implicit-def: $sgpr10_sgpr11
                                        ; implicit-def: $vgpr17_vgpr18
	s_cbranch_execz .LBB5_82
; %bb.81:
	v_cndmask_b32_e64 v18, v12, v14, s[0:1]
	v_cndmask_b32_e64 v17, v11, v13, s[0:1]
	s_andn2_b64 s[10:11], s[10:11], exec
	s_and_b64 s[0:1], s[0:1], exec
	s_or_b64 s[10:11], s[10:11], s[0:1]
.LBB5_82:
	s_and_saveexec_b64 s[0:1], s[10:11]
	s_cbranch_execz .LBB5_84
; %bb.83:
	s_ashr_i32 s53, s52, 31
	s_lshl_b64 s[10:11], s[52:53], 3
	s_add_u32 s10, s72, s10
	s_addc_u32 s11, s73, s11
	v_mov_b32_e32 v12, s11
	v_mov_b32_e32 v11, s10
	flat_store_dwordx2 v[11:12], v[17:18]
.LBB5_84:
	s_or_b64 exec, exec, s[0:1]
	s_cmp_lg_u64 s[44:45], 0
	s_cbranch_scc1 .LBB5_7
.LBB5_85:
	s_load_dwordx2 s[0:1], s[4:5], 0x178
	s_add_u32 s3, s4, 0x178
	v_mov_b32_e32 v11, 0
	s_addc_u32 s7, s5, 0
	global_load_dword v12, v11, s[4:5] offset:390
	s_waitcnt lgkmcnt(0)
	s_cmp_lt_u32 s6, s0
	s_cselect_b32 s9, 12, 18
	s_add_u32 s10, s3, s9
	s_addc_u32 s11, s7, 0
	global_load_ushort v11, v11, s[10:11]
	v_mbcnt_lo_u32_b32 v13, -1, 0
	v_mbcnt_hi_u32_b32 v19, -1, v13
	s_waitcnt vmcnt(0)
	v_readfirstlane_b32 s3, v12
	s_lshr_b32 s7, s3, 16
	s_and_b32 s3, s3, 0xffff
	v_readfirstlane_b32 s9, v11
	s_mul_i32 s3, s3, s9
	v_mul_u32_u24_e32 v12, v1, v11
	v_mul_lo_u32 v11, s3, v2
	s_mul_i32 s10, s3, s7
	s_ashr_i32 s11, s10, 31
	s_and_b32 s3, s10, 63
	s_cmp_lg_u32 s3, 0
	s_cselect_b64 s[44:45], -1, 0
	s_cmp_eq_u32 s3, 0
	v_add3_u32 v20, v12, v0, v11
	s_cbranch_scc1 .LBB5_234
; %bb.86:
	v_and_b32_e32 v15, 64, v19
	v_xor_b32_e32 v13, 1, v20
	v_and_or_b32 v11, v13, 63, v15
	v_lshlrev_b32_e32 v12, 2, v11
	ds_bpermute_b32 v11, v12, v9
	ds_bpermute_b32 v12, v12, v10
	v_xor_b32_e32 v16, 2, v20
	v_and_or_b32 v14, v16, 63, v15
	v_cmp_gt_i32_e32 vcc, s10, v13
	v_lshlrev_b32_e32 v14, 2, v14
	s_waitcnt lgkmcnt(0)
	v_add_f64 v[11:12], v[9:10], v[11:12]
	v_xor_b32_e32 v17, 4, v20
	v_and_or_b32 v18, v17, 63, v15
	v_lshlrev_b32_e32 v18, 2, v18
	v_cndmask_b32_e32 v12, v10, v12, vcc
	v_cndmask_b32_e32 v11, v9, v11, vcc
	ds_bpermute_b32 v13, v14, v11
	ds_bpermute_b32 v14, v14, v12
	v_cmp_gt_i32_e32 vcc, s10, v16
	v_xor_b32_e32 v16, 8, v20
	s_waitcnt lgkmcnt(0)
	v_add_f64 v[13:14], v[11:12], v[13:14]
	v_cndmask_b32_e32 v12, v12, v14, vcc
	v_cndmask_b32_e32 v11, v11, v13, vcc
	ds_bpermute_b32 v13, v18, v11
	ds_bpermute_b32 v14, v18, v12
	v_and_or_b32 v18, v16, 63, v15
	v_cmp_gt_i32_e32 vcc, s10, v17
	v_lshlrev_b32_e32 v18, 2, v18
	v_xor_b32_e32 v17, 16, v20
	s_waitcnt lgkmcnt(0)
	v_add_f64 v[13:14], v[11:12], v[13:14]
	v_cndmask_b32_e32 v12, v12, v14, vcc
	v_cndmask_b32_e32 v11, v11, v13, vcc
	ds_bpermute_b32 v13, v18, v11
	ds_bpermute_b32 v14, v18, v12
	v_and_or_b32 v18, v17, 63, v15
	v_cmp_gt_i32_e32 vcc, s10, v16
	v_lshlrev_b32_e32 v18, 2, v18
	v_xor_b32_e32 v16, 32, v20
	s_waitcnt lgkmcnt(0)
	v_add_f64 v[13:14], v[11:12], v[13:14]
	v_and_or_b32 v15, v16, 63, v15
	v_lshlrev_b32_e32 v15, 2, v15
	v_cndmask_b32_e32 v12, v12, v14, vcc
	v_cndmask_b32_e32 v11, v11, v13, vcc
	ds_bpermute_b32 v13, v18, v11
	ds_bpermute_b32 v14, v18, v12
	v_cmp_gt_i32_e32 vcc, s10, v17
	s_waitcnt lgkmcnt(0)
	v_add_f64 v[13:14], v[11:12], v[13:14]
	v_cndmask_b32_e32 v12, v12, v14, vcc
	v_cndmask_b32_e32 v11, v11, v13, vcc
	ds_bpermute_b32 v13, v15, v11
	ds_bpermute_b32 v14, v15, v12
	v_cmp_gt_i32_e32 vcc, s10, v16
	s_waitcnt lgkmcnt(0)
	v_add_f64 v[13:14], v[11:12], v[13:14]
	v_cndmask_b32_e32 v12, v12, v14, vcc
	v_cndmask_b32_e32 v11, v11, v13, vcc
	s_cbranch_execnz .LBB5_88
.LBB5_87:
	v_and_b32_e32 v11, 64, v19
	v_add_u32_e32 v15, 64, v11
	v_xor_b32_e32 v11, 1, v19
	v_cmp_lt_i32_e32 vcc, v11, v15
	v_cndmask_b32_e32 v11, v19, v11, vcc
	v_lshlrev_b32_e32 v12, 2, v11
	ds_bpermute_b32 v11, v12, v9
	ds_bpermute_b32 v12, v12, v10
	v_xor_b32_e32 v13, 2, v19
	v_cmp_lt_i32_e32 vcc, v13, v15
	v_cndmask_b32_e32 v13, v19, v13, vcc
	v_lshlrev_b32_e32 v14, 2, v13
	s_waitcnt lgkmcnt(0)
	v_add_f64 v[11:12], v[9:10], v[11:12]
	ds_bpermute_b32 v13, v14, v11
	ds_bpermute_b32 v14, v14, v12
	s_waitcnt lgkmcnt(0)
	v_add_f64 v[11:12], v[11:12], v[13:14]
	v_xor_b32_e32 v13, 4, v19
	v_cmp_lt_i32_e32 vcc, v13, v15
	v_cndmask_b32_e32 v13, v19, v13, vcc
	v_lshlrev_b32_e32 v14, 2, v13
	ds_bpermute_b32 v13, v14, v11
	ds_bpermute_b32 v14, v14, v12
	s_waitcnt lgkmcnt(0)
	v_add_f64 v[11:12], v[11:12], v[13:14]
	v_xor_b32_e32 v13, 8, v19
	v_cmp_lt_i32_e32 vcc, v13, v15
	v_cndmask_b32_e32 v13, v19, v13, vcc
	v_lshlrev_b32_e32 v14, 2, v13
	;; [unrolled: 8-line block ×4, first 2 shown]
	ds_bpermute_b32 v13, v14, v11
	ds_bpermute_b32 v14, v14, v12
	s_waitcnt lgkmcnt(0)
	v_add_f64 v[11:12], v[11:12], v[13:14]
.LBB5_88:
	v_ashrrev_i32_e32 v21, 31, v20
	s_load_dword s3, s[4:5], 0x180
	v_lshrrev_b32_e32 v13, 26, v21
	v_add_u32_e32 v13, v20, v13
	v_ashrrev_i32_e32 v22, 6, v13
	v_and_b32_e32 v13, 0xffffffc0, v13
	v_sub_u32_e32 v13, v20, v13
	s_cmp_gt_i32 s10, 64
	s_cselect_b64 s[48:49], -1, 0
	s_cmpk_lt_i32 s10, 0x41
	v_ashrrev_i32_e32 v14, 31, v13
	s_cbranch_scc1 .LBB5_96
; %bb.89:
	v_cmp_eq_u32_e32 vcc, 0, v13
	s_and_saveexec_b64 s[24:25], vcc
; %bb.90:
	v_lshlrev_b32_e32 v15, 3, v22
	ds_write_b64 v15, v[11:12] offset:256
; %bb.91:
	s_or_b64 exec, exec, s[24:25]
	v_add_co_u32_e32 v15, vcc, 63, v20
	v_addc_co_u32_e32 v16, vcc, 0, v21, vcc
	s_mov_b64 s[24:25], 0x7f
	v_cmp_gt_u64_e32 vcc, s[24:25], v[15:16]
	s_waitcnt lgkmcnt(0)
	s_barrier
	s_and_saveexec_b64 s[24:25], vcc
	s_cbranch_execz .LBB5_95
; %bb.92:
	v_lshlrev_b64 v[11:12], 6, v[13:14]
	v_cmp_gt_i64_e32 vcc, s[10:11], v[11:12]
	v_mov_b32_e32 v11, s40
	v_mov_b32_e32 v12, s41
	s_and_saveexec_b64 s[50:51], vcc
; %bb.93:
	v_lshlrev_b32_e32 v11, 3, v13
	ds_read_b64 v[11:12], v11 offset:256
; %bb.94:
	s_or_b64 exec, exec, s[50:51]
	v_and_b32_e32 v15, 64, v19
	v_add_u32_e32 v17, 64, v15
	v_xor_b32_e32 v15, 1, v19
	v_cmp_lt_i32_e32 vcc, v15, v17
	v_cndmask_b32_e32 v15, v19, v15, vcc
	v_lshlrev_b32_e32 v16, 2, v15
	s_waitcnt lgkmcnt(0)
	ds_bpermute_b32 v15, v16, v11
	ds_bpermute_b32 v16, v16, v12
	s_waitcnt lgkmcnt(0)
	v_add_f64 v[11:12], v[11:12], v[15:16]
	v_xor_b32_e32 v15, 2, v19
	v_cmp_lt_i32_e32 vcc, v15, v17
	v_cndmask_b32_e32 v15, v19, v15, vcc
	v_lshlrev_b32_e32 v16, 2, v15
	ds_bpermute_b32 v15, v16, v11
	ds_bpermute_b32 v16, v16, v12
	s_waitcnt lgkmcnt(0)
	v_add_f64 v[11:12], v[11:12], v[15:16]
	v_xor_b32_e32 v15, 4, v19
	v_cmp_lt_i32_e32 vcc, v15, v17
	v_cndmask_b32_e32 v15, v19, v15, vcc
	v_lshlrev_b32_e32 v16, 2, v15
	;; [unrolled: 8-line block ×3, first 2 shown]
	ds_bpermute_b32 v15, v16, v11
	ds_bpermute_b32 v16, v16, v12
	s_waitcnt lgkmcnt(0)
	v_add_f64 v[11:12], v[11:12], v[15:16]
.LBB5_95:
	s_or_b64 exec, exec, s[24:25]
	s_barrier
.LBB5_96:
	s_mul_i32 s7, s0, s2
	s_mul_i32 s0, s1, s0
	s_add_i32 s7, s7, s6
	s_mul_i32 s1, s0, s8
	s_add_i32 s1, s7, s1
	s_waitcnt lgkmcnt(0)
	s_mul_i32 s7, s3, s0
	s_ashr_i32 s0, s1, 31
	s_lshr_b32 s0, s0, 27
	s_add_i32 s9, s1, s0
	s_and_b32 s0, s9, 0xffffffe0
	s_sub_i32 s24, s1, s0
	s_ashr_i32 s0, s7, 31
	s_lshr_b32 s0, s0, 27
	s_add_i32 s0, s7, s0
	s_ashr_i32 s3, s0, 5
	s_andn2_b32 s0, s0, 31
	s_sub_i32 s0, s7, s0
	s_cmp_lt_i32 s24, s0
	s_cselect_b64 s[0:1], -1, 0
	s_cmp_lg_u64 s[0:1], 0
	s_addc_u32 s3, s3, 0
	s_cmp_gt_u32 s3, 1
	v_cmp_eq_u32_e64 s[0:1], 0, v20
	s_cbranch_scc0 .LBB5_117
; %bb.97:
	s_add_i32 s7, s7, 31
	s_ashr_i32 s25, s7, 31
	s_lshr_b32 s25, s25, 27
	s_add_i32 s7, s7, s25
	s_ashr_i32 s7, s7, 5
	s_mul_i32 s7, s7, s24
	s_and_saveexec_b64 s[50:51], s[0:1]
	s_cbranch_execz .LBB5_99
; %bb.98:
	s_ashr_i32 s9, s9, 5
	s_add_i32 s54, s7, s9
	s_ashr_i32 s55, s54, 31
	s_lshl_b32 s52, s24, 3
	s_lshl_b64 s[54:55], s[54:55], 3
	s_add_u32 s54, s70, s54
	s_addc_u32 s55, s71, s55
	s_ashr_i32 s53, s52, 31
	s_lshl_b64 s[52:53], s[52:53], 2
	v_mov_b32_e32 v15, s54
	s_add_u32 s42, s42, s52
	v_mov_b32_e32 v16, s55
	s_addc_u32 s43, s43, s53
	s_add_i32 s9, s3, -1
	flat_store_dwordx2 v[15:16], v[11:12]
	v_mov_b32_e32 v15, 0
	v_mov_b32_e32 v16, s9
	s_waitcnt vmcnt(0) lgkmcnt(0)
	global_atomic_inc v16, v15, v16, s[42:43] glc
	s_waitcnt vmcnt(0)
	v_cmp_eq_u32_e32 vcc, s9, v16
	v_cndmask_b32_e64 v16, 0, 1, vcc
	ds_write_b8 v15, v16 offset:386
.LBB5_99:
	s_or_b64 exec, exec, s[50:51]
	v_mov_b32_e32 v15, 0
	s_waitcnt lgkmcnt(0)
	s_barrier
	ds_read_u8 v15, v15 offset:386
	s_mov_b64 s[42:43], 0
	s_waitcnt lgkmcnt(0)
	v_cmp_eq_u32_e32 vcc, 0, v15
	v_mov_b32_e32 v16, v10
	v_mov_b32_e32 v15, v9
	s_cbranch_vccnz .LBB5_116
; %bb.100:
	v_mov_b32_e32 v15, s40
	v_cmp_gt_u32_e32 vcc, s3, v20
	v_mov_b32_e32 v16, s41
	s_and_saveexec_b64 s[42:43], vcc
	s_cbranch_execz .LBB5_104
; %bb.101:
	v_mov_b32_e32 v15, s40
	s_mov_b64 s[50:51], 0
	v_mov_b32_e32 v16, s41
	v_mov_b32_e32 v18, 0
	;; [unrolled: 1-line block ×4, first 2 shown]
.LBB5_102:                              ; =>This Inner Loop Header: Depth=1
	v_add_u32_e32 v17, s7, v24
	v_lshlrev_b64 v[25:26], 3, v[17:18]
	v_add_u32_e32 v24, s10, v24
	v_add_co_u32_e32 v25, vcc, s70, v25
	v_addc_co_u32_e32 v26, vcc, v23, v26, vcc
	flat_load_dwordx2 v[25:26], v[25:26] glc
	v_cmp_le_u32_e32 vcc, s3, v24
	s_or_b64 s[50:51], vcc, s[50:51]
	s_waitcnt vmcnt(0) lgkmcnt(0)
	v_add_f64 v[15:16], v[15:16], v[25:26]
	s_andn2_b64 exec, exec, s[50:51]
	s_cbranch_execnz .LBB5_102
; %bb.103:
	s_or_b64 exec, exec, s[50:51]
.LBB5_104:
	s_or_b64 exec, exec, s[42:43]
	s_andn2_b64 vcc, exec, s[44:45]
	s_cbranch_vccnz .LBB5_240
; %bb.105:
	v_and_b32_e32 v25, 64, v19
	v_xor_b32_e32 v23, 1, v20
	v_and_or_b32 v17, v23, 63, v25
	v_lshlrev_b32_e32 v18, 2, v17
	ds_bpermute_b32 v17, v18, v15
	ds_bpermute_b32 v18, v18, v16
	v_xor_b32_e32 v26, 2, v20
	v_and_or_b32 v24, v26, 63, v25
	v_cmp_gt_i32_e32 vcc, s10, v23
	v_lshlrev_b32_e32 v24, 2, v24
	s_waitcnt lgkmcnt(0)
	v_add_f64 v[17:18], v[15:16], v[17:18]
	v_xor_b32_e32 v27, 4, v20
	v_and_or_b32 v28, v27, 63, v25
	v_lshlrev_b32_e32 v28, 2, v28
	v_cndmask_b32_e32 v18, v16, v18, vcc
	v_cndmask_b32_e32 v17, v15, v17, vcc
	ds_bpermute_b32 v23, v24, v17
	ds_bpermute_b32 v24, v24, v18
	v_cmp_gt_i32_e32 vcc, s10, v26
	v_xor_b32_e32 v26, 8, v20
	s_waitcnt lgkmcnt(0)
	v_add_f64 v[23:24], v[17:18], v[23:24]
	v_cndmask_b32_e32 v18, v18, v24, vcc
	v_cndmask_b32_e32 v17, v17, v23, vcc
	ds_bpermute_b32 v23, v28, v17
	ds_bpermute_b32 v24, v28, v18
	v_and_or_b32 v28, v26, 63, v25
	v_cmp_gt_i32_e32 vcc, s10, v27
	v_lshlrev_b32_e32 v28, 2, v28
	v_xor_b32_e32 v27, 16, v20
	s_waitcnt lgkmcnt(0)
	v_add_f64 v[23:24], v[17:18], v[23:24]
	v_cndmask_b32_e32 v18, v18, v24, vcc
	v_cndmask_b32_e32 v17, v17, v23, vcc
	ds_bpermute_b32 v23, v28, v17
	ds_bpermute_b32 v24, v28, v18
	v_and_or_b32 v28, v27, 63, v25
	v_cmp_gt_i32_e32 vcc, s10, v26
	v_lshlrev_b32_e32 v28, 2, v28
	v_xor_b32_e32 v26, 32, v20
	s_waitcnt lgkmcnt(0)
	v_add_f64 v[23:24], v[17:18], v[23:24]
	v_and_or_b32 v25, v26, 63, v25
	v_lshlrev_b32_e32 v25, 2, v25
	v_cndmask_b32_e32 v18, v18, v24, vcc
	v_cndmask_b32_e32 v17, v17, v23, vcc
	ds_bpermute_b32 v23, v28, v17
	ds_bpermute_b32 v24, v28, v18
	v_cmp_gt_i32_e32 vcc, s10, v27
	s_waitcnt lgkmcnt(0)
	v_add_f64 v[23:24], v[17:18], v[23:24]
	v_cndmask_b32_e32 v18, v18, v24, vcc
	v_cndmask_b32_e32 v17, v17, v23, vcc
	ds_bpermute_b32 v23, v25, v17
	ds_bpermute_b32 v24, v25, v18
	v_cmp_gt_i32_e32 vcc, s10, v26
	s_waitcnt lgkmcnt(0)
	v_add_f64 v[23:24], v[17:18], v[23:24]
	v_cndmask_b32_e32 v18, v18, v24, vcc
	v_cndmask_b32_e32 v17, v17, v23, vcc
	s_cbranch_execnz .LBB5_107
.LBB5_106:
	v_and_b32_e32 v17, 64, v19
	v_add_u32_e32 v23, 64, v17
	v_xor_b32_e32 v17, 1, v19
	v_cmp_lt_i32_e32 vcc, v17, v23
	v_cndmask_b32_e32 v17, v19, v17, vcc
	v_lshlrev_b32_e32 v18, 2, v17
	ds_bpermute_b32 v17, v18, v15
	ds_bpermute_b32 v18, v18, v16
	s_waitcnt lgkmcnt(0)
	v_add_f64 v[15:16], v[15:16], v[17:18]
	v_xor_b32_e32 v17, 2, v19
	v_cmp_lt_i32_e32 vcc, v17, v23
	v_cndmask_b32_e32 v17, v19, v17, vcc
	v_lshlrev_b32_e32 v18, 2, v17
	ds_bpermute_b32 v17, v18, v15
	ds_bpermute_b32 v18, v18, v16
	s_waitcnt lgkmcnt(0)
	v_add_f64 v[15:16], v[15:16], v[17:18]
	;; [unrolled: 8-line block ×6, first 2 shown]
.LBB5_107:
	s_andn2_b64 vcc, exec, s[48:49]
	s_cbranch_vccnz .LBB5_115
; %bb.108:
	v_cmp_eq_u32_e32 vcc, 0, v13
	s_and_saveexec_b64 s[42:43], vcc
; %bb.109:
	v_lshlrev_b32_e32 v15, 3, v22
	ds_write_b64 v15, v[17:18] offset:256
; %bb.110:
	s_or_b64 exec, exec, s[42:43]
	v_add_co_u32_e32 v15, vcc, 63, v20
	v_addc_co_u32_e32 v16, vcc, 0, v21, vcc
	s_mov_b64 s[42:43], 0x7f
	v_cmp_gt_u64_e32 vcc, s[42:43], v[15:16]
	s_waitcnt lgkmcnt(0)
	s_barrier
	s_and_saveexec_b64 s[42:43], vcc
	s_cbranch_execz .LBB5_114
; %bb.111:
	v_lshlrev_b64 v[14:15], 6, v[13:14]
	v_cmp_gt_i64_e32 vcc, s[10:11], v[14:15]
	v_mov_b32_e32 v14, s40
	v_mov_b32_e32 v15, s41
	s_and_saveexec_b64 s[10:11], vcc
; %bb.112:
	v_lshlrev_b32_e32 v13, 3, v13
	ds_read_b64 v[14:15], v13 offset:256
; %bb.113:
	s_or_b64 exec, exec, s[10:11]
	v_and_b32_e32 v13, 64, v19
	v_add_u32_e32 v18, 64, v13
	v_xor_b32_e32 v13, 1, v19
	v_cmp_lt_i32_e32 vcc, v13, v18
	v_cndmask_b32_e32 v13, v19, v13, vcc
	v_lshlrev_b32_e32 v13, 2, v13
	s_waitcnt lgkmcnt(0)
	ds_bpermute_b32 v16, v13, v14
	ds_bpermute_b32 v17, v13, v15
	s_waitcnt lgkmcnt(0)
	v_add_f64 v[13:14], v[14:15], v[16:17]
	v_xor_b32_e32 v15, 2, v19
	v_cmp_lt_i32_e32 vcc, v15, v18
	v_cndmask_b32_e32 v15, v19, v15, vcc
	v_lshlrev_b32_e32 v16, 2, v15
	ds_bpermute_b32 v15, v16, v13
	ds_bpermute_b32 v16, v16, v14
	s_waitcnt lgkmcnt(0)
	v_add_f64 v[13:14], v[13:14], v[15:16]
	v_xor_b32_e32 v15, 4, v19
	v_cmp_lt_i32_e32 vcc, v15, v18
	v_cndmask_b32_e32 v15, v19, v15, vcc
	v_lshlrev_b32_e32 v16, 2, v15
	;; [unrolled: 8-line block ×3, first 2 shown]
	ds_bpermute_b32 v15, v16, v13
	ds_bpermute_b32 v16, v16, v14
	s_waitcnt lgkmcnt(0)
	v_add_f64 v[17:18], v[13:14], v[15:16]
.LBB5_114:
	s_or_b64 exec, exec, s[42:43]
	s_barrier
.LBB5_115:
	v_mov_b32_e32 v13, 0
	ds_read_u8 v13, v13 offset:386
	v_cndmask_b32_e64 v16, v10, v18, s[0:1]
	v_cndmask_b32_e64 v15, v9, v17, s[0:1]
	s_waitcnt lgkmcnt(0)
	v_and_b32_e32 v13, 1, v13
	v_cmp_eq_u32_e64 s[42:43], 1, v13
.LBB5_116:
	s_and_b64 s[10:11], s[0:1], s[42:43]
	s_branch .LBB5_119
.LBB5_117:
                                        ; implicit-def: $sgpr10_sgpr11
                                        ; implicit-def: $vgpr15_vgpr16
	s_cbranch_execz .LBB5_119
; %bb.118:
	v_cndmask_b32_e64 v16, v10, v12, s[0:1]
	v_cndmask_b32_e64 v15, v9, v11, s[0:1]
	s_andn2_b64 s[10:11], s[10:11], exec
	s_and_b64 s[0:1], s[0:1], exec
	s_or_b64 s[10:11], s[10:11], s[0:1]
.LBB5_119:
	s_and_saveexec_b64 s[0:1], s[10:11]
	s_cbranch_execz .LBB5_121
; %bb.120:
	s_ashr_i32 s25, s24, 31
	s_lshl_b64 s[10:11], s[24:25], 3
	s_add_u32 s10, s46, s10
	s_addc_u32 s11, s47, s11
	v_mov_b32_e32 v9, s10
	v_mov_b32_e32 v10, s11
	flat_store_dwordx2 v[9:10], v[15:16]
.LBB5_121:
	s_or_b64 exec, exec, s[0:1]
	s_cmp_lg_u64 s[36:37], 0
	s_cbranch_scc1 .LBB5_8
.LBB5_122:
	s_load_dwordx2 s[10:11], s[4:5], 0x178
	s_add_u32 s0, s4, 0x178
	v_mov_b32_e32 v9, 0
	s_addc_u32 s1, s5, 0
	global_load_dword v10, v9, s[4:5] offset:390
	s_waitcnt lgkmcnt(0)
	s_cmp_lt_u32 s6, s10
	s_cselect_b32 s3, 12, 18
	s_add_u32 s0, s0, s3
	s_addc_u32 s1, s1, 0
	global_load_ushort v9, v9, s[0:1]
	v_mbcnt_lo_u32_b32 v11, -1, 0
	v_mbcnt_hi_u32_b32 v17, -1, v11
	s_waitcnt vmcnt(0)
	v_readfirstlane_b32 s0, v10
	s_lshr_b32 s1, s0, 16
	s_and_b32 s0, s0, 0xffff
	v_readfirstlane_b32 s3, v9
	s_mul_i32 s0, s0, s3
	v_mul_u32_u24_e32 v10, v1, v9
	v_mul_lo_u32 v9, s0, v2
	s_mul_i32 s24, s0, s1
	s_ashr_i32 s25, s24, 31
	s_and_b32 s0, s24, 63
	s_cmp_lg_u32 s0, 0
	s_cselect_b64 s[40:41], -1, 0
	s_cmp_eq_u32 s0, 0
	v_add3_u32 v18, v10, v0, v9
	s_cbranch_scc1 .LBB5_235
; %bb.123:
	v_and_b32_e32 v13, 64, v17
	v_xor_b32_e32 v11, 1, v18
	v_and_or_b32 v9, v11, 63, v13
	v_lshlrev_b32_e32 v9, 2, v9
	ds_bpermute_b32 v12, v9, v8
	ds_bpermute_b32 v9, v9, v7
	v_xor_b32_e32 v14, 2, v18
	v_cmp_gt_i32_e64 s[0:1], s24, v11
	v_xor_b32_e32 v16, 4, v18
	s_waitcnt lgkmcnt(1)
	v_mov_b32_e32 v10, v12
	s_waitcnt lgkmcnt(0)
	v_cmp_lt_f64_e32 vcc, v[7:8], v[9:10]
	v_and_or_b32 v10, v14, 63, v13
	v_lshlrev_b32_e32 v11, 2, v10
	s_and_b64 vcc, s[0:1], vcc
	v_cndmask_b32_e32 v10, v8, v12, vcc
	v_cndmask_b32_e32 v9, v7, v9, vcc
	ds_bpermute_b32 v15, v11, v10
	ds_bpermute_b32 v11, v11, v9
	v_cmp_gt_i32_e64 s[0:1], s24, v14
	s_waitcnt lgkmcnt(1)
	v_mov_b32_e32 v12, v15
	s_waitcnt lgkmcnt(0)
	v_cmp_lt_f64_e32 vcc, v[9:10], v[11:12]
	v_and_or_b32 v12, v16, 63, v13
	v_lshlrev_b32_e32 v12, 2, v12
	s_and_b64 vcc, s[0:1], vcc
	v_cndmask_b32_e32 v10, v10, v15, vcc
	v_cndmask_b32_e32 v9, v9, v11, vcc
	ds_bpermute_b32 v14, v12, v10
	ds_bpermute_b32 v11, v12, v9
	v_xor_b32_e32 v15, 8, v18
	v_cmp_gt_i32_e64 s[0:1], s24, v16
	v_xor_b32_e32 v16, 16, v18
	s_waitcnt lgkmcnt(1)
	v_mov_b32_e32 v12, v14
	s_waitcnt lgkmcnt(0)
	v_cmp_lt_f64_e32 vcc, v[9:10], v[11:12]
	v_and_or_b32 v12, v15, 63, v13
	v_lshlrev_b32_e32 v12, 2, v12
	s_and_b64 vcc, s[0:1], vcc
	v_cndmask_b32_e32 v10, v10, v14, vcc
	v_cndmask_b32_e32 v9, v9, v11, vcc
	ds_bpermute_b32 v14, v12, v10
	ds_bpermute_b32 v11, v12, v9
	v_cmp_gt_i32_e64 s[0:1], s24, v15
	v_xor_b32_e32 v15, 32, v18
	s_waitcnt lgkmcnt(1)
	v_mov_b32_e32 v12, v14
	s_waitcnt lgkmcnt(0)
	v_cmp_lt_f64_e32 vcc, v[9:10], v[11:12]
	v_and_or_b32 v12, v16, 63, v13
	v_lshlrev_b32_e32 v12, 2, v12
	s_and_b64 vcc, s[0:1], vcc
	v_cndmask_b32_e32 v10, v10, v14, vcc
	v_cndmask_b32_e32 v9, v9, v11, vcc
	ds_bpermute_b32 v14, v12, v10
	ds_bpermute_b32 v11, v12, v9
	v_cmp_gt_i32_e64 s[0:1], s24, v16
	s_waitcnt lgkmcnt(1)
	v_mov_b32_e32 v12, v14
	s_waitcnt lgkmcnt(0)
	v_cmp_lt_f64_e32 vcc, v[9:10], v[11:12]
	v_and_or_b32 v12, v15, 63, v13
	v_lshlrev_b32_e32 v12, 2, v12
	s_and_b64 vcc, s[0:1], vcc
	v_cndmask_b32_e32 v10, v10, v14, vcc
	v_cndmask_b32_e32 v9, v9, v11, vcc
	ds_bpermute_b32 v13, v12, v10
	ds_bpermute_b32 v11, v12, v9
	v_cmp_gt_i32_e64 s[0:1], s24, v15
	s_waitcnt lgkmcnt(1)
	v_mov_b32_e32 v12, v13
	s_waitcnt lgkmcnt(0)
	v_cmp_lt_f64_e32 vcc, v[9:10], v[11:12]
	s_and_b64 vcc, s[0:1], vcc
	v_cndmask_b32_e32 v10, v10, v13, vcc
	v_cndmask_b32_e32 v9, v9, v11, vcc
	s_cbranch_execnz .LBB5_125
.LBB5_124:
	v_and_b32_e32 v9, 64, v17
	v_add_u32_e32 v13, 64, v9
	v_xor_b32_e32 v9, 1, v17
	v_cmp_lt_i32_e32 vcc, v9, v13
	v_cndmask_b32_e32 v9, v17, v9, vcc
	v_lshlrev_b32_e32 v9, 2, v9
	ds_bpermute_b32 v11, v9, v8
	ds_bpermute_b32 v9, v9, v7
	s_waitcnt lgkmcnt(1)
	v_mov_b32_e32 v10, v11
	s_waitcnt lgkmcnt(0)
	v_cmp_lt_f64_e32 vcc, v[7:8], v[9:10]
	v_xor_b32_e32 v10, 2, v17
	v_cmp_lt_i32_e64 s[0:1], v10, v13
	v_cndmask_b32_e64 v10, v17, v10, s[0:1]
	v_lshlrev_b32_e32 v12, 2, v10
	v_cndmask_b32_e32 v10, v8, v11, vcc
	ds_bpermute_b32 v14, v12, v10
	v_cndmask_b32_e32 v9, v7, v9, vcc
	ds_bpermute_b32 v11, v12, v9
	s_waitcnt lgkmcnt(1)
	v_mov_b32_e32 v12, v14
	s_waitcnt lgkmcnt(0)
	v_cmp_lt_f64_e32 vcc, v[9:10], v[11:12]
	v_xor_b32_e32 v12, 4, v17
	v_cmp_lt_i32_e64 s[0:1], v12, v13
	v_cndmask_b32_e64 v12, v17, v12, s[0:1]
	v_lshlrev_b32_e32 v12, 2, v12
	v_cndmask_b32_e32 v10, v10, v14, vcc
	ds_bpermute_b32 v14, v12, v10
	v_cndmask_b32_e32 v9, v9, v11, vcc
	ds_bpermute_b32 v11, v12, v9
	s_waitcnt lgkmcnt(1)
	v_mov_b32_e32 v12, v14
	s_waitcnt lgkmcnt(0)
	v_cmp_lt_f64_e32 vcc, v[9:10], v[11:12]
	v_xor_b32_e32 v12, 8, v17
	v_cmp_lt_i32_e64 s[0:1], v12, v13
	v_cndmask_b32_e64 v12, v17, v12, s[0:1]
	v_lshlrev_b32_e32 v12, 2, v12
	v_cndmask_b32_e32 v10, v10, v14, vcc
	ds_bpermute_b32 v14, v12, v10
	v_cndmask_b32_e32 v9, v9, v11, vcc
	ds_bpermute_b32 v11, v12, v9
	s_waitcnt lgkmcnt(1)
	v_mov_b32_e32 v12, v14
	s_waitcnt lgkmcnt(0)
	v_cmp_lt_f64_e32 vcc, v[9:10], v[11:12]
	v_xor_b32_e32 v12, 16, v17
	v_cmp_lt_i32_e64 s[0:1], v12, v13
	v_cndmask_b32_e64 v12, v17, v12, s[0:1]
	v_lshlrev_b32_e32 v12, 2, v12
	v_cndmask_b32_e32 v10, v10, v14, vcc
	ds_bpermute_b32 v14, v12, v10
	v_cndmask_b32_e32 v9, v9, v11, vcc
	ds_bpermute_b32 v11, v12, v9
	s_waitcnt lgkmcnt(1)
	v_mov_b32_e32 v12, v14
	s_waitcnt lgkmcnt(0)
	v_cmp_lt_f64_e32 vcc, v[9:10], v[11:12]
	v_xor_b32_e32 v12, 32, v17
	v_cmp_lt_i32_e64 s[0:1], v12, v13
	v_cndmask_b32_e64 v12, v17, v12, s[0:1]
	v_lshlrev_b32_e32 v12, 2, v12
	v_cndmask_b32_e32 v10, v10, v14, vcc
	v_cndmask_b32_e32 v9, v9, v11, vcc
	ds_bpermute_b32 v13, v12, v10
	ds_bpermute_b32 v11, v12, v9
	s_waitcnt lgkmcnt(1)
	v_mov_b32_e32 v12, v13
	s_waitcnt lgkmcnt(0)
	v_cmp_lt_f64_e32 vcc, v[9:10], v[11:12]
	v_cndmask_b32_e32 v10, v10, v13, vcc
	v_cndmask_b32_e32 v9, v9, v11, vcc
.LBB5_125:
	v_ashrrev_i32_e32 v19, 31, v18
	s_load_dword s3, s[4:5], 0x180
	v_lshrrev_b32_e32 v11, 26, v19
	v_add_u32_e32 v11, v18, v11
	v_ashrrev_i32_e32 v20, 6, v11
	v_and_b32_e32 v11, 0xffffffc0, v11
	v_sub_u32_e32 v11, v18, v11
	s_cmp_gt_i32 s24, 64
	s_cselect_b64 s[42:43], -1, 0
	s_cmpk_lt_i32 s24, 0x41
	v_ashrrev_i32_e32 v12, 31, v11
	s_cbranch_scc1 .LBB5_133
; %bb.126:
	v_cmp_eq_u32_e32 vcc, 0, v11
	s_and_saveexec_b64 s[0:1], vcc
; %bb.127:
	v_lshlrev_b32_e32 v13, 3, v20
	ds_write_b64 v13, v[9:10]
; %bb.128:
	s_or_b64 exec, exec, s[0:1]
	v_add_co_u32_e32 v13, vcc, 63, v18
	v_addc_co_u32_e32 v14, vcc, 0, v19, vcc
	s_mov_b64 s[0:1], 0x7f
	v_cmp_gt_u64_e32 vcc, s[0:1], v[13:14]
	s_waitcnt lgkmcnt(0)
	s_barrier
	s_and_saveexec_b64 s[36:37], vcc
	s_cbranch_execz .LBB5_132
; %bb.129:
	v_lshlrev_b64 v[9:10], 6, v[11:12]
	v_cmp_gt_i64_e32 vcc, s[24:25], v[9:10]
	v_mov_b32_e32 v9, s28
	v_mov_b32_e32 v10, s29
	s_and_saveexec_b64 s[0:1], vcc
; %bb.130:
	v_lshlrev_b32_e32 v9, 3, v11
	ds_read_b64 v[9:10], v9
; %bb.131:
	s_or_b64 exec, exec, s[0:1]
	v_and_b32_e32 v13, 64, v17
	v_add_u32_e32 v15, 64, v13
	v_xor_b32_e32 v13, 1, v17
	v_cmp_lt_i32_e32 vcc, v13, v15
	v_cndmask_b32_e32 v13, v17, v13, vcc
	v_lshlrev_b32_e32 v13, 2, v13
	s_waitcnt lgkmcnt(0)
	ds_bpermute_b32 v16, v13, v10
	ds_bpermute_b32 v13, v13, v9
	s_waitcnt lgkmcnt(1)
	v_mov_b32_e32 v14, v16
	s_waitcnt lgkmcnt(0)
	v_cmp_lt_f64_e32 vcc, v[9:10], v[13:14]
	v_xor_b32_e32 v14, 2, v17
	v_cmp_lt_i32_e64 s[0:1], v14, v15
	v_cndmask_b32_e64 v14, v17, v14, s[0:1]
	v_lshlrev_b32_e32 v14, 2, v14
	v_cndmask_b32_e32 v10, v10, v16, vcc
	ds_bpermute_b32 v16, v14, v10
	v_cndmask_b32_e32 v9, v9, v13, vcc
	ds_bpermute_b32 v13, v14, v9
	s_waitcnt lgkmcnt(1)
	v_mov_b32_e32 v14, v16
	s_waitcnt lgkmcnt(0)
	v_cmp_lt_f64_e32 vcc, v[9:10], v[13:14]
	v_xor_b32_e32 v14, 4, v17
	v_cmp_lt_i32_e64 s[0:1], v14, v15
	v_cndmask_b32_e64 v14, v17, v14, s[0:1]
	v_lshlrev_b32_e32 v14, 2, v14
	v_cndmask_b32_e32 v10, v10, v16, vcc
	ds_bpermute_b32 v16, v14, v10
	v_cndmask_b32_e32 v9, v9, v13, vcc
	ds_bpermute_b32 v13, v14, v9
	s_waitcnt lgkmcnt(1)
	v_mov_b32_e32 v14, v16
	s_waitcnt lgkmcnt(0)
	v_cmp_lt_f64_e32 vcc, v[9:10], v[13:14]
	v_xor_b32_e32 v14, 8, v17
	v_cmp_lt_i32_e64 s[0:1], v14, v15
	v_cndmask_b32_e64 v14, v17, v14, s[0:1]
	v_lshlrev_b32_e32 v14, 2, v14
	v_cndmask_b32_e32 v10, v10, v16, vcc
	v_cndmask_b32_e32 v9, v9, v13, vcc
	ds_bpermute_b32 v15, v14, v10
	ds_bpermute_b32 v13, v14, v9
	s_waitcnt lgkmcnt(1)
	v_mov_b32_e32 v14, v15
	s_waitcnt lgkmcnt(0)
	v_cmp_lt_f64_e32 vcc, v[9:10], v[13:14]
	v_cndmask_b32_e32 v10, v10, v15, vcc
	v_cndmask_b32_e32 v9, v9, v13, vcc
.LBB5_132:
	s_or_b64 exec, exec, s[36:37]
	s_barrier
.LBB5_133:
	s_mul_i32 s0, s10, s2
	s_mul_i32 s1, s11, s10
	s_add_i32 s0, s0, s6
	s_mul_i32 s7, s1, s8
	s_add_i32 s0, s0, s7
	s_waitcnt lgkmcnt(0)
	s_mul_i32 s7, s3, s1
	s_ashr_i32 s1, s0, 31
	s_lshr_b32 s1, s1, 27
	s_add_i32 s9, s0, s1
	s_and_b32 s1, s9, 0xffffffe0
	s_sub_i32 s36, s0, s1
	s_ashr_i32 s0, s7, 31
	s_lshr_b32 s0, s0, 27
	s_add_i32 s0, s7, s0
	s_ashr_i32 s3, s0, 5
	s_andn2_b32 s0, s0, 31
	s_sub_i32 s0, s7, s0
	s_cmp_lt_i32 s36, s0
	s_cselect_b64 s[0:1], -1, 0
	s_cmp_lg_u64 s[0:1], 0
	s_addc_u32 s3, s3, 0
	s_cmp_gt_u32 s3, 1
	v_cmp_eq_u32_e64 s[0:1], 0, v18
	s_cbranch_scc0 .LBB5_154
; %bb.134:
	s_add_i32 s7, s7, 31
	s_ashr_i32 s10, s7, 31
	s_lshr_b32 s10, s10, 27
	s_add_i32 s7, s7, s10
	s_ashr_i32 s7, s7, 5
	s_mul_i32 s7, s7, s36
	s_and_saveexec_b64 s[10:11], s[0:1]
	s_cbranch_execz .LBB5_136
; %bb.135:
	s_ashr_i32 s9, s9, 5
	s_add_i32 s46, s7, s9
	s_ashr_i32 s47, s46, 31
	s_lshl_b32 s44, s36, 3
	s_lshl_b64 s[46:47], s[46:47], 3
	s_add_u32 s46, s68, s46
	s_addc_u32 s47, s69, s47
	s_ashr_i32 s45, s44, 31
	s_lshl_b64 s[44:45], s[44:45], 2
	v_mov_b32_e32 v13, s46
	s_add_u32 s30, s30, s44
	v_mov_b32_e32 v14, s47
	s_addc_u32 s31, s31, s45
	s_add_i32 s9, s3, -1
	flat_store_dwordx2 v[13:14], v[9:10]
	v_mov_b32_e32 v13, 0
	v_mov_b32_e32 v14, s9
	s_waitcnt vmcnt(0) lgkmcnt(0)
	global_atomic_inc v14, v13, v14, s[30:31] glc
	s_waitcnt vmcnt(0)
	v_cmp_eq_u32_e32 vcc, s9, v14
	v_cndmask_b32_e64 v14, 0, 1, vcc
	ds_write_b8 v13, v14 offset:384
.LBB5_136:
	s_or_b64 exec, exec, s[10:11]
	v_mov_b32_e32 v13, 0
	s_waitcnt lgkmcnt(0)
	s_barrier
	ds_read_u8 v13, v13 offset:384
	s_mov_b64 s[10:11], 0
	s_waitcnt lgkmcnt(0)
	v_and_b32_e32 v13, 1, v13
	v_cmp_eq_u32_e32 vcc, 0, v13
	v_mov_b32_e32 v14, v8
	v_mov_b32_e32 v13, v7
	s_cbranch_vccnz .LBB5_153
; %bb.137:
	v_mov_b32_e32 v13, s28
	v_cmp_gt_u32_e32 vcc, s3, v18
	v_mov_b32_e32 v14, s29
	s_and_saveexec_b64 s[30:31], vcc
	s_cbranch_execz .LBB5_141
; %bb.138:
	v_mov_b32_e32 v13, s28
	s_mov_b64 s[44:45], 0
	v_mov_b32_e32 v14, s29
	v_mov_b32_e32 v16, 0
	;; [unrolled: 1-line block ×4, first 2 shown]
.LBB5_139:                              ; =>This Inner Loop Header: Depth=1
	v_add_u32_e32 v15, s7, v22
	v_lshlrev_b64 v[23:24], 3, v[15:16]
	v_add_u32_e32 v22, s24, v22
	v_add_co_u32_e32 v23, vcc, s68, v23
	v_addc_co_u32_e32 v24, vcc, v21, v24, vcc
	flat_load_dwordx2 v[23:24], v[23:24] glc
	v_cmp_le_u32_e64 s[10:11], s3, v22
	s_or_b64 s[44:45], s[10:11], s[44:45]
	s_waitcnt vmcnt(0) lgkmcnt(0)
	v_cmp_lt_f64_e32 vcc, v[13:14], v[23:24]
	v_cndmask_b32_e32 v14, v14, v24, vcc
	v_cndmask_b32_e32 v13, v13, v23, vcc
	s_andn2_b64 exec, exec, s[44:45]
	s_cbranch_execnz .LBB5_139
; %bb.140:
	s_or_b64 exec, exec, s[44:45]
.LBB5_141:
	s_or_b64 exec, exec, s[30:31]
	s_andn2_b64 vcc, exec, s[40:41]
	s_cbranch_vccnz .LBB5_241
; %bb.142:
	v_and_b32_e32 v23, 64, v17
	v_xor_b32_e32 v21, 1, v18
	v_and_or_b32 v15, v21, 63, v23
	v_lshlrev_b32_e32 v15, 2, v15
	ds_bpermute_b32 v22, v15, v14
	ds_bpermute_b32 v15, v15, v13
	v_xor_b32_e32 v24, 2, v18
	v_cmp_gt_i32_e64 s[10:11], s24, v21
	v_xor_b32_e32 v26, 4, v18
	s_waitcnt lgkmcnt(1)
	v_mov_b32_e32 v16, v22
	s_waitcnt lgkmcnt(0)
	v_cmp_lt_f64_e32 vcc, v[13:14], v[15:16]
	v_and_or_b32 v16, v24, 63, v23
	v_lshlrev_b32_e32 v21, 2, v16
	s_and_b64 vcc, s[10:11], vcc
	v_cndmask_b32_e32 v16, v14, v22, vcc
	v_cndmask_b32_e32 v15, v13, v15, vcc
	ds_bpermute_b32 v25, v21, v16
	ds_bpermute_b32 v21, v21, v15
	v_cmp_gt_i32_e64 s[10:11], s24, v24
	s_waitcnt lgkmcnt(1)
	v_mov_b32_e32 v22, v25
	s_waitcnt lgkmcnt(0)
	v_cmp_lt_f64_e32 vcc, v[15:16], v[21:22]
	v_and_or_b32 v22, v26, 63, v23
	v_lshlrev_b32_e32 v22, 2, v22
	s_and_b64 vcc, s[10:11], vcc
	v_cndmask_b32_e32 v16, v16, v25, vcc
	v_cndmask_b32_e32 v15, v15, v21, vcc
	ds_bpermute_b32 v24, v22, v16
	ds_bpermute_b32 v21, v22, v15
	v_xor_b32_e32 v25, 8, v18
	v_cmp_gt_i32_e64 s[10:11], s24, v26
	v_xor_b32_e32 v26, 16, v18
	s_waitcnt lgkmcnt(1)
	v_mov_b32_e32 v22, v24
	s_waitcnt lgkmcnt(0)
	v_cmp_lt_f64_e32 vcc, v[15:16], v[21:22]
	v_and_or_b32 v22, v25, 63, v23
	v_lshlrev_b32_e32 v22, 2, v22
	s_and_b64 vcc, s[10:11], vcc
	v_cndmask_b32_e32 v16, v16, v24, vcc
	v_cndmask_b32_e32 v15, v15, v21, vcc
	ds_bpermute_b32 v24, v22, v16
	ds_bpermute_b32 v21, v22, v15
	v_cmp_gt_i32_e64 s[10:11], s24, v25
	v_xor_b32_e32 v25, 32, v18
	s_waitcnt lgkmcnt(1)
	v_mov_b32_e32 v22, v24
	s_waitcnt lgkmcnt(0)
	v_cmp_lt_f64_e32 vcc, v[15:16], v[21:22]
	v_and_or_b32 v22, v26, 63, v23
	v_lshlrev_b32_e32 v22, 2, v22
	s_and_b64 vcc, s[10:11], vcc
	v_cndmask_b32_e32 v16, v16, v24, vcc
	v_cndmask_b32_e32 v15, v15, v21, vcc
	ds_bpermute_b32 v24, v22, v16
	ds_bpermute_b32 v21, v22, v15
	v_cmp_gt_i32_e64 s[10:11], s24, v26
	s_waitcnt lgkmcnt(1)
	v_mov_b32_e32 v22, v24
	s_waitcnt lgkmcnt(0)
	v_cmp_lt_f64_e32 vcc, v[15:16], v[21:22]
	v_and_or_b32 v22, v25, 63, v23
	v_lshlrev_b32_e32 v22, 2, v22
	s_and_b64 vcc, s[10:11], vcc
	v_cndmask_b32_e32 v16, v16, v24, vcc
	v_cndmask_b32_e32 v15, v15, v21, vcc
	ds_bpermute_b32 v23, v22, v16
	ds_bpermute_b32 v21, v22, v15
	v_cmp_gt_i32_e64 s[10:11], s24, v25
	s_waitcnt lgkmcnt(1)
	v_mov_b32_e32 v22, v23
	s_waitcnt lgkmcnt(0)
	v_cmp_lt_f64_e32 vcc, v[15:16], v[21:22]
	s_and_b64 vcc, s[10:11], vcc
	v_cndmask_b32_e32 v16, v16, v23, vcc
	v_cndmask_b32_e32 v15, v15, v21, vcc
	s_cbranch_execnz .LBB5_144
.LBB5_143:
	v_and_b32_e32 v15, 64, v17
	v_add_u32_e32 v21, 64, v15
	v_xor_b32_e32 v15, 1, v17
	v_cmp_lt_i32_e32 vcc, v15, v21
	v_cndmask_b32_e32 v15, v17, v15, vcc
	v_lshlrev_b32_e32 v15, 2, v15
	ds_bpermute_b32 v22, v15, v14
	ds_bpermute_b32 v15, v15, v13
	s_waitcnt lgkmcnt(1)
	v_mov_b32_e32 v16, v22
	s_waitcnt lgkmcnt(0)
	v_cmp_lt_f64_e32 vcc, v[13:14], v[15:16]
	v_xor_b32_e32 v16, 2, v17
	v_cmp_lt_i32_e64 s[10:11], v16, v21
	v_cndmask_b32_e64 v16, v17, v16, s[10:11]
	v_lshlrev_b32_e32 v16, 2, v16
	v_cndmask_b32_e32 v14, v14, v22, vcc
	ds_bpermute_b32 v22, v16, v14
	v_cndmask_b32_e32 v13, v13, v15, vcc
	ds_bpermute_b32 v15, v16, v13
	s_waitcnt lgkmcnt(1)
	v_mov_b32_e32 v16, v22
	s_waitcnt lgkmcnt(0)
	v_cmp_lt_f64_e32 vcc, v[13:14], v[15:16]
	v_xor_b32_e32 v16, 4, v17
	v_cmp_lt_i32_e64 s[10:11], v16, v21
	v_cndmask_b32_e64 v16, v17, v16, s[10:11]
	v_lshlrev_b32_e32 v16, 2, v16
	v_cndmask_b32_e32 v14, v14, v22, vcc
	ds_bpermute_b32 v22, v16, v14
	v_cndmask_b32_e32 v13, v13, v15, vcc
	ds_bpermute_b32 v15, v16, v13
	s_waitcnt lgkmcnt(1)
	v_mov_b32_e32 v16, v22
	s_waitcnt lgkmcnt(0)
	v_cmp_lt_f64_e32 vcc, v[13:14], v[15:16]
	v_xor_b32_e32 v16, 8, v17
	v_cmp_lt_i32_e64 s[10:11], v16, v21
	v_cndmask_b32_e64 v16, v17, v16, s[10:11]
	v_lshlrev_b32_e32 v16, 2, v16
	v_cndmask_b32_e32 v14, v14, v22, vcc
	ds_bpermute_b32 v22, v16, v14
	v_cndmask_b32_e32 v13, v13, v15, vcc
	ds_bpermute_b32 v15, v16, v13
	s_waitcnt lgkmcnt(1)
	v_mov_b32_e32 v16, v22
	s_waitcnt lgkmcnt(0)
	v_cmp_lt_f64_e32 vcc, v[13:14], v[15:16]
	v_xor_b32_e32 v16, 16, v17
	v_cmp_lt_i32_e64 s[10:11], v16, v21
	v_cndmask_b32_e64 v16, v17, v16, s[10:11]
	v_lshlrev_b32_e32 v16, 2, v16
	v_cndmask_b32_e32 v14, v14, v22, vcc
	ds_bpermute_b32 v22, v16, v14
	v_cndmask_b32_e32 v13, v13, v15, vcc
	ds_bpermute_b32 v15, v16, v13
	s_waitcnt lgkmcnt(1)
	v_mov_b32_e32 v16, v22
	s_waitcnt lgkmcnt(0)
	v_cmp_lt_f64_e32 vcc, v[13:14], v[15:16]
	v_xor_b32_e32 v16, 32, v17
	v_cmp_lt_i32_e64 s[10:11], v16, v21
	v_cndmask_b32_e64 v16, v17, v16, s[10:11]
	v_lshlrev_b32_e32 v16, 2, v16
	v_cndmask_b32_e32 v14, v14, v22, vcc
	v_cndmask_b32_e32 v13, v13, v15, vcc
	ds_bpermute_b32 v21, v16, v14
	ds_bpermute_b32 v15, v16, v13
	s_waitcnt lgkmcnt(1)
	v_mov_b32_e32 v16, v21
	s_waitcnt lgkmcnt(0)
	v_cmp_lt_f64_e32 vcc, v[13:14], v[15:16]
	v_cndmask_b32_e32 v16, v14, v21, vcc
	v_cndmask_b32_e32 v15, v13, v15, vcc
.LBB5_144:
	s_andn2_b64 vcc, exec, s[42:43]
	s_cbranch_vccnz .LBB5_152
; %bb.145:
	v_cmp_eq_u32_e32 vcc, 0, v11
	s_and_saveexec_b64 s[10:11], vcc
; %bb.146:
	v_lshlrev_b32_e32 v13, 3, v20
	ds_write_b64 v13, v[15:16]
; %bb.147:
	s_or_b64 exec, exec, s[10:11]
	v_add_co_u32_e32 v13, vcc, 63, v18
	v_addc_co_u32_e32 v14, vcc, 0, v19, vcc
	s_mov_b64 s[10:11], 0x7f
	v_cmp_gt_u64_e32 vcc, s[10:11], v[13:14]
	s_waitcnt lgkmcnt(0)
	s_barrier
	s_and_saveexec_b64 s[30:31], vcc
	s_cbranch_execz .LBB5_151
; %bb.148:
	v_lshlrev_b64 v[12:13], 6, v[11:12]
	v_cmp_gt_i64_e32 vcc, s[24:25], v[12:13]
	v_mov_b32_e32 v12, s28
	v_mov_b32_e32 v13, s29
	s_and_saveexec_b64 s[10:11], vcc
; %bb.149:
	v_lshlrev_b32_e32 v11, 3, v11
	ds_read_b64 v[12:13], v11
; %bb.150:
	s_or_b64 exec, exec, s[10:11]
	v_and_b32_e32 v11, 64, v17
	v_add_u32_e32 v11, 64, v11
	v_xor_b32_e32 v14, 1, v17
	v_cmp_lt_i32_e32 vcc, v14, v11
	v_cndmask_b32_e32 v14, v17, v14, vcc
	v_lshlrev_b32_e32 v14, 2, v14
	s_waitcnt lgkmcnt(0)
	ds_bpermute_b32 v16, v14, v13
	ds_bpermute_b32 v14, v14, v12
	s_waitcnt lgkmcnt(1)
	v_mov_b32_e32 v15, v16
	s_waitcnt lgkmcnt(0)
	v_cmp_lt_f64_e32 vcc, v[12:13], v[14:15]
	v_xor_b32_e32 v15, 2, v17
	v_cmp_lt_i32_e64 s[10:11], v15, v11
	v_cndmask_b32_e64 v15, v17, v15, s[10:11]
	v_lshlrev_b32_e32 v15, 2, v15
	v_cndmask_b32_e32 v13, v13, v16, vcc
	ds_bpermute_b32 v16, v15, v13
	v_cndmask_b32_e32 v12, v12, v14, vcc
	ds_bpermute_b32 v14, v15, v12
	s_waitcnt lgkmcnt(1)
	v_mov_b32_e32 v15, v16
	s_waitcnt lgkmcnt(0)
	v_cmp_lt_f64_e32 vcc, v[12:13], v[14:15]
	v_xor_b32_e32 v15, 4, v17
	v_cmp_lt_i32_e64 s[10:11], v15, v11
	v_cndmask_b32_e64 v15, v17, v15, s[10:11]
	v_lshlrev_b32_e32 v15, 2, v15
	v_cndmask_b32_e32 v13, v13, v16, vcc
	ds_bpermute_b32 v16, v15, v13
	v_cndmask_b32_e32 v12, v12, v14, vcc
	ds_bpermute_b32 v14, v15, v12
	s_waitcnt lgkmcnt(1)
	v_mov_b32_e32 v15, v16
	s_waitcnt lgkmcnt(0)
	v_cmp_lt_f64_e32 vcc, v[12:13], v[14:15]
	v_xor_b32_e32 v15, 8, v17
	v_cmp_lt_i32_e64 s[10:11], v15, v11
	v_cndmask_b32_e64 v11, v17, v15, s[10:11]
	v_lshlrev_b32_e32 v11, 2, v11
	v_cndmask_b32_e32 v13, v13, v16, vcc
	v_cndmask_b32_e32 v12, v12, v14, vcc
	ds_bpermute_b32 v16, v11, v13
	ds_bpermute_b32 v14, v11, v12
	s_waitcnt lgkmcnt(1)
	v_mov_b32_e32 v15, v16
	s_waitcnt lgkmcnt(0)
	v_cmp_lt_f64_e32 vcc, v[12:13], v[14:15]
	v_cndmask_b32_e32 v16, v13, v16, vcc
	v_cndmask_b32_e32 v15, v12, v14, vcc
.LBB5_151:
	s_or_b64 exec, exec, s[30:31]
	s_barrier
.LBB5_152:
	v_mov_b32_e32 v11, 0
	ds_read_u8 v11, v11 offset:384
	v_cndmask_b32_e64 v14, v8, v16, s[0:1]
	v_cndmask_b32_e64 v13, v7, v15, s[0:1]
	s_waitcnt lgkmcnt(0)
	v_and_b32_e32 v11, 1, v11
	v_cmp_eq_u32_e64 s[10:11], 1, v11
.LBB5_153:
	s_and_b64 s[10:11], s[0:1], s[10:11]
	s_branch .LBB5_156
.LBB5_154:
                                        ; implicit-def: $sgpr10_sgpr11
                                        ; implicit-def: $vgpr13_vgpr14
	s_cbranch_execz .LBB5_156
; %bb.155:
	v_cndmask_b32_e64 v14, v8, v10, s[0:1]
	v_cndmask_b32_e64 v13, v7, v9, s[0:1]
	s_andn2_b64 s[10:11], s[10:11], exec
	s_and_b64 s[0:1], s[0:1], exec
	s_or_b64 s[10:11], s[10:11], s[0:1]
.LBB5_156:
	s_and_saveexec_b64 s[0:1], s[10:11]
	s_cbranch_execz .LBB5_158
; %bb.157:
	s_ashr_i32 s37, s36, 31
	s_lshl_b64 s[10:11], s[36:37], 3
	s_add_u32 s10, s38, s10
	s_addc_u32 s11, s39, s11
	v_mov_b32_e32 v7, s10
	v_mov_b32_e32 v8, s11
	flat_store_dwordx2 v[7:8], v[13:14]
.LBB5_158:
	s_or_b64 exec, exec, s[0:1]
	s_cmp_lg_u64 s[26:27], 0
	s_cbranch_scc1 .LBB5_9
.LBB5_159:
	s_load_dwordx2 s[10:11], s[4:5], 0x178
	s_add_u32 s0, s4, 0x178
	v_mov_b32_e32 v7, 0
	s_addc_u32 s1, s5, 0
	global_load_dword v8, v7, s[4:5] offset:390
	s_waitcnt lgkmcnt(0)
	s_cmp_lt_u32 s6, s10
	s_cselect_b32 s3, 12, 18
	s_add_u32 s0, s0, s3
	s_addc_u32 s1, s1, 0
	global_load_ushort v7, v7, s[0:1]
	v_mbcnt_lo_u32_b32 v9, -1, 0
	v_mbcnt_hi_u32_b32 v15, -1, v9
	s_waitcnt vmcnt(0)
	v_readfirstlane_b32 s0, v8
	s_lshr_b32 s1, s0, 16
	s_and_b32 s0, s0, 0xffff
	v_readfirstlane_b32 s3, v7
	s_mul_i32 s0, s0, s3
	v_mul_u32_u24_e32 v8, v1, v7
	v_mul_lo_u32 v7, s0, v2
	s_mul_i32 s24, s0, s1
	s_ashr_i32 s25, s24, 31
	s_and_b32 s0, s24, 63
	s_cmp_lg_u32 s0, 0
	s_cselect_b64 s[28:29], -1, 0
	s_cmp_eq_u32 s0, 0
	v_add3_u32 v16, v8, v0, v7
	s_cbranch_scc1 .LBB5_236
; %bb.160:
	v_and_b32_e32 v11, 64, v15
	v_xor_b32_e32 v9, 1, v16
	v_and_or_b32 v7, v9, 63, v11
	v_lshlrev_b32_e32 v7, 2, v7
	ds_bpermute_b32 v10, v7, v6
	ds_bpermute_b32 v7, v7, v5
	v_xor_b32_e32 v12, 2, v16
	v_cmp_gt_i32_e64 s[0:1], s24, v9
	v_xor_b32_e32 v14, 4, v16
	s_waitcnt lgkmcnt(1)
	v_mov_b32_e32 v8, v10
	s_waitcnt lgkmcnt(0)
	v_cmp_gt_f64_e32 vcc, v[5:6], v[7:8]
	v_and_or_b32 v8, v12, 63, v11
	v_lshlrev_b32_e32 v9, 2, v8
	s_and_b64 vcc, s[0:1], vcc
	v_cndmask_b32_e32 v8, v6, v10, vcc
	v_cndmask_b32_e32 v7, v5, v7, vcc
	ds_bpermute_b32 v13, v9, v8
	ds_bpermute_b32 v9, v9, v7
	v_cmp_gt_i32_e64 s[0:1], s24, v12
	s_waitcnt lgkmcnt(1)
	v_mov_b32_e32 v10, v13
	s_waitcnt lgkmcnt(0)
	v_cmp_gt_f64_e32 vcc, v[7:8], v[9:10]
	v_and_or_b32 v10, v14, 63, v11
	v_lshlrev_b32_e32 v10, 2, v10
	s_and_b64 vcc, s[0:1], vcc
	v_cndmask_b32_e32 v8, v8, v13, vcc
	v_cndmask_b32_e32 v7, v7, v9, vcc
	ds_bpermute_b32 v12, v10, v8
	ds_bpermute_b32 v9, v10, v7
	v_xor_b32_e32 v13, 8, v16
	v_cmp_gt_i32_e64 s[0:1], s24, v14
	v_xor_b32_e32 v14, 16, v16
	s_waitcnt lgkmcnt(1)
	v_mov_b32_e32 v10, v12
	s_waitcnt lgkmcnt(0)
	v_cmp_gt_f64_e32 vcc, v[7:8], v[9:10]
	v_and_or_b32 v10, v13, 63, v11
	v_lshlrev_b32_e32 v10, 2, v10
	s_and_b64 vcc, s[0:1], vcc
	v_cndmask_b32_e32 v8, v8, v12, vcc
	v_cndmask_b32_e32 v7, v7, v9, vcc
	ds_bpermute_b32 v12, v10, v8
	ds_bpermute_b32 v9, v10, v7
	v_cmp_gt_i32_e64 s[0:1], s24, v13
	v_xor_b32_e32 v13, 32, v16
	s_waitcnt lgkmcnt(1)
	v_mov_b32_e32 v10, v12
	s_waitcnt lgkmcnt(0)
	v_cmp_gt_f64_e32 vcc, v[7:8], v[9:10]
	v_and_or_b32 v10, v14, 63, v11
	v_lshlrev_b32_e32 v10, 2, v10
	s_and_b64 vcc, s[0:1], vcc
	v_cndmask_b32_e32 v8, v8, v12, vcc
	v_cndmask_b32_e32 v7, v7, v9, vcc
	ds_bpermute_b32 v12, v10, v8
	ds_bpermute_b32 v9, v10, v7
	v_cmp_gt_i32_e64 s[0:1], s24, v14
	s_waitcnt lgkmcnt(1)
	v_mov_b32_e32 v10, v12
	s_waitcnt lgkmcnt(0)
	v_cmp_gt_f64_e32 vcc, v[7:8], v[9:10]
	v_and_or_b32 v10, v13, 63, v11
	v_lshlrev_b32_e32 v10, 2, v10
	s_and_b64 vcc, s[0:1], vcc
	v_cndmask_b32_e32 v8, v8, v12, vcc
	v_cndmask_b32_e32 v7, v7, v9, vcc
	ds_bpermute_b32 v11, v10, v8
	ds_bpermute_b32 v9, v10, v7
	v_cmp_gt_i32_e64 s[0:1], s24, v13
	s_waitcnt lgkmcnt(1)
	v_mov_b32_e32 v10, v11
	s_waitcnt lgkmcnt(0)
	v_cmp_gt_f64_e32 vcc, v[7:8], v[9:10]
	s_and_b64 vcc, s[0:1], vcc
	v_cndmask_b32_e32 v8, v8, v11, vcc
	v_cndmask_b32_e32 v7, v7, v9, vcc
	s_cbranch_execnz .LBB5_162
.LBB5_161:
	v_and_b32_e32 v7, 64, v15
	v_add_u32_e32 v11, 64, v7
	v_xor_b32_e32 v7, 1, v15
	v_cmp_lt_i32_e32 vcc, v7, v11
	v_cndmask_b32_e32 v7, v15, v7, vcc
	v_lshlrev_b32_e32 v7, 2, v7
	ds_bpermute_b32 v9, v7, v6
	ds_bpermute_b32 v7, v7, v5
	s_waitcnt lgkmcnt(1)
	v_mov_b32_e32 v8, v9
	s_waitcnt lgkmcnt(0)
	v_cmp_gt_f64_e32 vcc, v[5:6], v[7:8]
	v_xor_b32_e32 v8, 2, v15
	v_cmp_lt_i32_e64 s[0:1], v8, v11
	v_cndmask_b32_e64 v8, v15, v8, s[0:1]
	v_lshlrev_b32_e32 v10, 2, v8
	v_cndmask_b32_e32 v8, v6, v9, vcc
	ds_bpermute_b32 v12, v10, v8
	v_cndmask_b32_e32 v7, v5, v7, vcc
	ds_bpermute_b32 v9, v10, v7
	s_waitcnt lgkmcnt(1)
	v_mov_b32_e32 v10, v12
	s_waitcnt lgkmcnt(0)
	v_cmp_gt_f64_e32 vcc, v[7:8], v[9:10]
	v_xor_b32_e32 v10, 4, v15
	v_cmp_lt_i32_e64 s[0:1], v10, v11
	v_cndmask_b32_e64 v10, v15, v10, s[0:1]
	v_lshlrev_b32_e32 v10, 2, v10
	v_cndmask_b32_e32 v8, v8, v12, vcc
	ds_bpermute_b32 v12, v10, v8
	v_cndmask_b32_e32 v7, v7, v9, vcc
	;; [unrolled: 12-line block ×4, first 2 shown]
	ds_bpermute_b32 v9, v10, v7
	s_waitcnt lgkmcnt(1)
	v_mov_b32_e32 v10, v12
	s_waitcnt lgkmcnt(0)
	v_cmp_gt_f64_e32 vcc, v[7:8], v[9:10]
	v_xor_b32_e32 v10, 32, v15
	v_cmp_lt_i32_e64 s[0:1], v10, v11
	v_cndmask_b32_e64 v10, v15, v10, s[0:1]
	v_lshlrev_b32_e32 v10, 2, v10
	v_cndmask_b32_e32 v8, v8, v12, vcc
	v_cndmask_b32_e32 v7, v7, v9, vcc
	ds_bpermute_b32 v11, v10, v8
	ds_bpermute_b32 v9, v10, v7
	s_waitcnt lgkmcnt(1)
	v_mov_b32_e32 v10, v11
	s_waitcnt lgkmcnt(0)
	v_cmp_gt_f64_e32 vcc, v[7:8], v[9:10]
	v_cndmask_b32_e32 v8, v8, v11, vcc
	v_cndmask_b32_e32 v7, v7, v9, vcc
.LBB5_162:
	v_ashrrev_i32_e32 v17, 31, v16
	s_load_dword s3, s[4:5], 0x180
	v_lshrrev_b32_e32 v9, 26, v17
	v_add_u32_e32 v9, v16, v9
	v_ashrrev_i32_e32 v18, 6, v9
	v_and_b32_e32 v9, 0xffffffc0, v9
	v_sub_u32_e32 v9, v16, v9
	s_cmp_gt_i32 s24, 64
	s_cselect_b64 s[30:31], -1, 0
	s_cmpk_lt_i32 s24, 0x41
	v_ashrrev_i32_e32 v10, 31, v9
	s_cbranch_scc1 .LBB5_170
; %bb.163:
	v_cmp_eq_u32_e32 vcc, 0, v9
	s_and_saveexec_b64 s[0:1], vcc
; %bb.164:
	v_lshlrev_b32_e32 v11, 3, v18
	ds_write_b64 v11, v[7:8] offset:128
; %bb.165:
	s_or_b64 exec, exec, s[0:1]
	v_add_co_u32_e32 v11, vcc, 63, v16
	v_addc_co_u32_e32 v12, vcc, 0, v17, vcc
	s_mov_b64 s[0:1], 0x7f
	v_cmp_gt_u64_e32 vcc, s[0:1], v[11:12]
	s_waitcnt lgkmcnt(0)
	s_barrier
	s_and_saveexec_b64 s[26:27], vcc
	s_cbranch_execz .LBB5_169
; %bb.166:
	v_lshlrev_b64 v[7:8], 6, v[9:10]
	v_cmp_gt_i64_e32 vcc, s[24:25], v[7:8]
	v_mov_b32_e32 v7, s20
	v_mov_b32_e32 v8, s21
	s_and_saveexec_b64 s[0:1], vcc
; %bb.167:
	v_lshlrev_b32_e32 v7, 3, v9
	ds_read_b64 v[7:8], v7 offset:128
; %bb.168:
	s_or_b64 exec, exec, s[0:1]
	v_and_b32_e32 v11, 64, v15
	v_add_u32_e32 v13, 64, v11
	v_xor_b32_e32 v11, 1, v15
	v_cmp_lt_i32_e32 vcc, v11, v13
	v_cndmask_b32_e32 v11, v15, v11, vcc
	v_lshlrev_b32_e32 v11, 2, v11
	s_waitcnt lgkmcnt(0)
	ds_bpermute_b32 v14, v11, v8
	ds_bpermute_b32 v11, v11, v7
	s_waitcnt lgkmcnt(1)
	v_mov_b32_e32 v12, v14
	s_waitcnt lgkmcnt(0)
	v_cmp_gt_f64_e32 vcc, v[7:8], v[11:12]
	v_xor_b32_e32 v12, 2, v15
	v_cmp_lt_i32_e64 s[0:1], v12, v13
	v_cndmask_b32_e64 v12, v15, v12, s[0:1]
	v_lshlrev_b32_e32 v12, 2, v12
	v_cndmask_b32_e32 v8, v8, v14, vcc
	ds_bpermute_b32 v14, v12, v8
	v_cndmask_b32_e32 v7, v7, v11, vcc
	ds_bpermute_b32 v11, v12, v7
	s_waitcnt lgkmcnt(1)
	v_mov_b32_e32 v12, v14
	s_waitcnt lgkmcnt(0)
	v_cmp_gt_f64_e32 vcc, v[7:8], v[11:12]
	v_xor_b32_e32 v12, 4, v15
	v_cmp_lt_i32_e64 s[0:1], v12, v13
	v_cndmask_b32_e64 v12, v15, v12, s[0:1]
	v_lshlrev_b32_e32 v12, 2, v12
	v_cndmask_b32_e32 v8, v8, v14, vcc
	ds_bpermute_b32 v14, v12, v8
	v_cndmask_b32_e32 v7, v7, v11, vcc
	ds_bpermute_b32 v11, v12, v7
	s_waitcnt lgkmcnt(1)
	v_mov_b32_e32 v12, v14
	s_waitcnt lgkmcnt(0)
	v_cmp_gt_f64_e32 vcc, v[7:8], v[11:12]
	v_xor_b32_e32 v12, 8, v15
	v_cmp_lt_i32_e64 s[0:1], v12, v13
	v_cndmask_b32_e64 v12, v15, v12, s[0:1]
	v_lshlrev_b32_e32 v12, 2, v12
	v_cndmask_b32_e32 v8, v8, v14, vcc
	v_cndmask_b32_e32 v7, v7, v11, vcc
	ds_bpermute_b32 v13, v12, v8
	ds_bpermute_b32 v11, v12, v7
	s_waitcnt lgkmcnt(1)
	v_mov_b32_e32 v12, v13
	s_waitcnt lgkmcnt(0)
	v_cmp_gt_f64_e32 vcc, v[7:8], v[11:12]
	v_cndmask_b32_e32 v8, v8, v13, vcc
	v_cndmask_b32_e32 v7, v7, v11, vcc
.LBB5_169:
	s_or_b64 exec, exec, s[26:27]
	s_barrier
.LBB5_170:
	s_mul_i32 s0, s10, s2
	s_mul_i32 s1, s11, s10
	s_add_i32 s0, s0, s6
	s_mul_i32 s7, s1, s8
	s_add_i32 s0, s0, s7
	s_waitcnt lgkmcnt(0)
	s_mul_i32 s7, s3, s1
	s_ashr_i32 s1, s0, 31
	s_lshr_b32 s1, s1, 27
	s_add_i32 s9, s0, s1
	s_and_b32 s1, s9, 0xffffffe0
	s_sub_i32 s26, s0, s1
	s_ashr_i32 s0, s7, 31
	s_lshr_b32 s0, s0, 27
	s_add_i32 s0, s7, s0
	s_ashr_i32 s3, s0, 5
	s_andn2_b32 s0, s0, 31
	s_sub_i32 s0, s7, s0
	s_cmp_lt_i32 s26, s0
	s_cselect_b64 s[0:1], -1, 0
	s_cmp_lg_u64 s[0:1], 0
	s_addc_u32 s3, s3, 0
	s_cmp_gt_u32 s3, 1
	v_cmp_eq_u32_e64 s[0:1], 0, v16
	s_cbranch_scc0 .LBB5_191
; %bb.171:
	s_add_i32 s7, s7, 31
	s_ashr_i32 s10, s7, 31
	s_lshr_b32 s10, s10, 27
	s_add_i32 s7, s7, s10
	s_ashr_i32 s7, s7, 5
	s_mul_i32 s7, s7, s26
	s_and_saveexec_b64 s[10:11], s[0:1]
	s_cbranch_execz .LBB5_173
; %bb.172:
	s_ashr_i32 s9, s9, 5
	s_add_i32 s38, s7, s9
	s_ashr_i32 s39, s38, 31
	s_lshl_b32 s36, s26, 3
	s_lshl_b64 s[38:39], s[38:39], 3
	s_add_u32 s38, s66, s38
	s_addc_u32 s39, s67, s39
	s_ashr_i32 s37, s36, 31
	s_lshl_b64 s[36:37], s[36:37], 2
	v_mov_b32_e32 v11, s38
	s_add_u32 s22, s22, s36
	v_mov_b32_e32 v12, s39
	s_addc_u32 s23, s23, s37
	s_add_i32 s9, s3, -1
	flat_store_dwordx2 v[11:12], v[7:8]
	v_mov_b32_e32 v11, 0
	v_mov_b32_e32 v12, s9
	s_waitcnt vmcnt(0) lgkmcnt(0)
	global_atomic_inc v12, v11, v12, s[22:23] glc
	s_waitcnt vmcnt(0)
	v_cmp_eq_u32_e32 vcc, s9, v12
	v_cndmask_b32_e64 v12, 0, 1, vcc
	ds_write_b8 v11, v12 offset:385
.LBB5_173:
	s_or_b64 exec, exec, s[10:11]
	v_mov_b32_e32 v11, 0
	s_waitcnt lgkmcnt(0)
	s_barrier
	ds_read_u8 v11, v11 offset:385
	s_mov_b64 s[10:11], 0
	s_waitcnt lgkmcnt(0)
	v_cmp_eq_u32_e32 vcc, 0, v11
	v_mov_b32_e32 v12, v6
	v_mov_b32_e32 v11, v5
	s_cbranch_vccnz .LBB5_190
; %bb.174:
	v_mov_b32_e32 v11, s20
	v_cmp_gt_u32_e32 vcc, s3, v16
	v_mov_b32_e32 v12, s21
	s_and_saveexec_b64 s[22:23], vcc
	s_cbranch_execz .LBB5_178
; %bb.175:
	v_mov_b32_e32 v11, s20
	s_mov_b64 s[36:37], 0
	v_mov_b32_e32 v12, s21
	v_mov_b32_e32 v14, 0
	;; [unrolled: 1-line block ×4, first 2 shown]
.LBB5_176:                              ; =>This Inner Loop Header: Depth=1
	v_add_u32_e32 v13, s7, v20
	v_lshlrev_b64 v[21:22], 3, v[13:14]
	v_add_u32_e32 v20, s24, v20
	v_add_co_u32_e32 v21, vcc, s66, v21
	v_addc_co_u32_e32 v22, vcc, v19, v22, vcc
	flat_load_dwordx2 v[21:22], v[21:22] glc
	v_cmp_le_u32_e64 s[10:11], s3, v20
	s_or_b64 s[36:37], s[10:11], s[36:37]
	s_waitcnt vmcnt(0) lgkmcnt(0)
	v_cmp_gt_f64_e32 vcc, v[11:12], v[21:22]
	v_cndmask_b32_e32 v12, v12, v22, vcc
	v_cndmask_b32_e32 v11, v11, v21, vcc
	s_andn2_b64 exec, exec, s[36:37]
	s_cbranch_execnz .LBB5_176
; %bb.177:
	s_or_b64 exec, exec, s[36:37]
.LBB5_178:
	s_or_b64 exec, exec, s[22:23]
	s_andn2_b64 vcc, exec, s[28:29]
	s_cbranch_vccnz .LBB5_242
; %bb.179:
	v_and_b32_e32 v21, 64, v15
	v_xor_b32_e32 v19, 1, v16
	v_and_or_b32 v13, v19, 63, v21
	v_lshlrev_b32_e32 v13, 2, v13
	ds_bpermute_b32 v20, v13, v12
	ds_bpermute_b32 v13, v13, v11
	v_xor_b32_e32 v22, 2, v16
	v_cmp_gt_i32_e64 s[10:11], s24, v19
	v_xor_b32_e32 v24, 4, v16
	s_waitcnt lgkmcnt(1)
	v_mov_b32_e32 v14, v20
	s_waitcnt lgkmcnt(0)
	v_cmp_gt_f64_e32 vcc, v[11:12], v[13:14]
	v_and_or_b32 v14, v22, 63, v21
	v_lshlrev_b32_e32 v19, 2, v14
	s_and_b64 vcc, s[10:11], vcc
	v_cndmask_b32_e32 v14, v12, v20, vcc
	v_cndmask_b32_e32 v13, v11, v13, vcc
	ds_bpermute_b32 v23, v19, v14
	ds_bpermute_b32 v19, v19, v13
	v_cmp_gt_i32_e64 s[10:11], s24, v22
	s_waitcnt lgkmcnt(1)
	v_mov_b32_e32 v20, v23
	s_waitcnt lgkmcnt(0)
	v_cmp_gt_f64_e32 vcc, v[13:14], v[19:20]
	v_and_or_b32 v20, v24, 63, v21
	v_lshlrev_b32_e32 v20, 2, v20
	s_and_b64 vcc, s[10:11], vcc
	v_cndmask_b32_e32 v14, v14, v23, vcc
	v_cndmask_b32_e32 v13, v13, v19, vcc
	ds_bpermute_b32 v22, v20, v14
	ds_bpermute_b32 v19, v20, v13
	v_xor_b32_e32 v23, 8, v16
	v_cmp_gt_i32_e64 s[10:11], s24, v24
	v_xor_b32_e32 v24, 16, v16
	s_waitcnt lgkmcnt(1)
	v_mov_b32_e32 v20, v22
	s_waitcnt lgkmcnt(0)
	v_cmp_gt_f64_e32 vcc, v[13:14], v[19:20]
	v_and_or_b32 v20, v23, 63, v21
	v_lshlrev_b32_e32 v20, 2, v20
	s_and_b64 vcc, s[10:11], vcc
	v_cndmask_b32_e32 v14, v14, v22, vcc
	v_cndmask_b32_e32 v13, v13, v19, vcc
	ds_bpermute_b32 v22, v20, v14
	ds_bpermute_b32 v19, v20, v13
	v_cmp_gt_i32_e64 s[10:11], s24, v23
	v_xor_b32_e32 v23, 32, v16
	s_waitcnt lgkmcnt(1)
	v_mov_b32_e32 v20, v22
	s_waitcnt lgkmcnt(0)
	v_cmp_gt_f64_e32 vcc, v[13:14], v[19:20]
	v_and_or_b32 v20, v24, 63, v21
	v_lshlrev_b32_e32 v20, 2, v20
	s_and_b64 vcc, s[10:11], vcc
	v_cndmask_b32_e32 v14, v14, v22, vcc
	v_cndmask_b32_e32 v13, v13, v19, vcc
	ds_bpermute_b32 v22, v20, v14
	ds_bpermute_b32 v19, v20, v13
	v_cmp_gt_i32_e64 s[10:11], s24, v24
	s_waitcnt lgkmcnt(1)
	v_mov_b32_e32 v20, v22
	s_waitcnt lgkmcnt(0)
	v_cmp_gt_f64_e32 vcc, v[13:14], v[19:20]
	v_and_or_b32 v20, v23, 63, v21
	v_lshlrev_b32_e32 v20, 2, v20
	s_and_b64 vcc, s[10:11], vcc
	v_cndmask_b32_e32 v14, v14, v22, vcc
	v_cndmask_b32_e32 v13, v13, v19, vcc
	ds_bpermute_b32 v21, v20, v14
	ds_bpermute_b32 v19, v20, v13
	v_cmp_gt_i32_e64 s[10:11], s24, v23
	s_waitcnt lgkmcnt(1)
	v_mov_b32_e32 v20, v21
	s_waitcnt lgkmcnt(0)
	v_cmp_gt_f64_e32 vcc, v[13:14], v[19:20]
	s_and_b64 vcc, s[10:11], vcc
	v_cndmask_b32_e32 v14, v14, v21, vcc
	v_cndmask_b32_e32 v13, v13, v19, vcc
	s_cbranch_execnz .LBB5_181
.LBB5_180:
	v_and_b32_e32 v13, 64, v15
	v_add_u32_e32 v19, 64, v13
	v_xor_b32_e32 v13, 1, v15
	v_cmp_lt_i32_e32 vcc, v13, v19
	v_cndmask_b32_e32 v13, v15, v13, vcc
	v_lshlrev_b32_e32 v13, 2, v13
	ds_bpermute_b32 v20, v13, v12
	ds_bpermute_b32 v13, v13, v11
	s_waitcnt lgkmcnt(1)
	v_mov_b32_e32 v14, v20
	s_waitcnt lgkmcnt(0)
	v_cmp_gt_f64_e32 vcc, v[11:12], v[13:14]
	v_xor_b32_e32 v14, 2, v15
	v_cmp_lt_i32_e64 s[10:11], v14, v19
	v_cndmask_b32_e64 v14, v15, v14, s[10:11]
	v_lshlrev_b32_e32 v14, 2, v14
	v_cndmask_b32_e32 v12, v12, v20, vcc
	ds_bpermute_b32 v20, v14, v12
	v_cndmask_b32_e32 v11, v11, v13, vcc
	ds_bpermute_b32 v13, v14, v11
	s_waitcnt lgkmcnt(1)
	v_mov_b32_e32 v14, v20
	s_waitcnt lgkmcnt(0)
	v_cmp_gt_f64_e32 vcc, v[11:12], v[13:14]
	v_xor_b32_e32 v14, 4, v15
	v_cmp_lt_i32_e64 s[10:11], v14, v19
	v_cndmask_b32_e64 v14, v15, v14, s[10:11]
	v_lshlrev_b32_e32 v14, 2, v14
	v_cndmask_b32_e32 v12, v12, v20, vcc
	ds_bpermute_b32 v20, v14, v12
	v_cndmask_b32_e32 v11, v11, v13, vcc
	;; [unrolled: 12-line block ×4, first 2 shown]
	ds_bpermute_b32 v13, v14, v11
	s_waitcnt lgkmcnt(1)
	v_mov_b32_e32 v14, v20
	s_waitcnt lgkmcnt(0)
	v_cmp_gt_f64_e32 vcc, v[11:12], v[13:14]
	v_xor_b32_e32 v14, 32, v15
	v_cmp_lt_i32_e64 s[10:11], v14, v19
	v_cndmask_b32_e64 v14, v15, v14, s[10:11]
	v_lshlrev_b32_e32 v14, 2, v14
	v_cndmask_b32_e32 v12, v12, v20, vcc
	v_cndmask_b32_e32 v11, v11, v13, vcc
	ds_bpermute_b32 v19, v14, v12
	ds_bpermute_b32 v13, v14, v11
	s_waitcnt lgkmcnt(1)
	v_mov_b32_e32 v14, v19
	s_waitcnt lgkmcnt(0)
	v_cmp_gt_f64_e32 vcc, v[11:12], v[13:14]
	v_cndmask_b32_e32 v14, v12, v19, vcc
	v_cndmask_b32_e32 v13, v11, v13, vcc
.LBB5_181:
	s_andn2_b64 vcc, exec, s[30:31]
	s_cbranch_vccnz .LBB5_189
; %bb.182:
	v_cmp_eq_u32_e32 vcc, 0, v9
	s_and_saveexec_b64 s[10:11], vcc
; %bb.183:
	v_lshlrev_b32_e32 v11, 3, v18
	ds_write_b64 v11, v[13:14] offset:128
; %bb.184:
	s_or_b64 exec, exec, s[10:11]
	v_add_co_u32_e32 v11, vcc, 63, v16
	v_addc_co_u32_e32 v12, vcc, 0, v17, vcc
	s_mov_b64 s[10:11], 0x7f
	v_cmp_gt_u64_e32 vcc, s[10:11], v[11:12]
	s_waitcnt lgkmcnt(0)
	s_barrier
	s_and_saveexec_b64 s[22:23], vcc
	s_cbranch_execz .LBB5_188
; %bb.185:
	v_lshlrev_b64 v[10:11], 6, v[9:10]
	v_cmp_gt_i64_e32 vcc, s[24:25], v[10:11]
	v_mov_b32_e32 v10, s20
	v_mov_b32_e32 v11, s21
	s_and_saveexec_b64 s[10:11], vcc
; %bb.186:
	v_lshlrev_b32_e32 v9, 3, v9
	ds_read_b64 v[10:11], v9 offset:128
; %bb.187:
	s_or_b64 exec, exec, s[10:11]
	v_and_b32_e32 v9, 64, v15
	v_add_u32_e32 v9, 64, v9
	v_xor_b32_e32 v12, 1, v15
	v_cmp_lt_i32_e32 vcc, v12, v9
	v_cndmask_b32_e32 v12, v15, v12, vcc
	v_lshlrev_b32_e32 v12, 2, v12
	s_waitcnt lgkmcnt(0)
	ds_bpermute_b32 v14, v12, v11
	ds_bpermute_b32 v12, v12, v10
	s_waitcnt lgkmcnt(1)
	v_mov_b32_e32 v13, v14
	s_waitcnt lgkmcnt(0)
	v_cmp_gt_f64_e32 vcc, v[10:11], v[12:13]
	v_xor_b32_e32 v13, 2, v15
	v_cmp_lt_i32_e64 s[10:11], v13, v9
	v_cndmask_b32_e64 v13, v15, v13, s[10:11]
	v_lshlrev_b32_e32 v13, 2, v13
	v_cndmask_b32_e32 v11, v11, v14, vcc
	ds_bpermute_b32 v14, v13, v11
	v_cndmask_b32_e32 v10, v10, v12, vcc
	ds_bpermute_b32 v12, v13, v10
	s_waitcnt lgkmcnt(1)
	v_mov_b32_e32 v13, v14
	s_waitcnt lgkmcnt(0)
	v_cmp_gt_f64_e32 vcc, v[10:11], v[12:13]
	v_xor_b32_e32 v13, 4, v15
	v_cmp_lt_i32_e64 s[10:11], v13, v9
	v_cndmask_b32_e64 v13, v15, v13, s[10:11]
	v_lshlrev_b32_e32 v13, 2, v13
	v_cndmask_b32_e32 v11, v11, v14, vcc
	ds_bpermute_b32 v14, v13, v11
	v_cndmask_b32_e32 v10, v10, v12, vcc
	ds_bpermute_b32 v12, v13, v10
	s_waitcnt lgkmcnt(1)
	v_mov_b32_e32 v13, v14
	s_waitcnt lgkmcnt(0)
	v_cmp_gt_f64_e32 vcc, v[10:11], v[12:13]
	v_xor_b32_e32 v13, 8, v15
	v_cmp_lt_i32_e64 s[10:11], v13, v9
	v_cndmask_b32_e64 v9, v15, v13, s[10:11]
	v_lshlrev_b32_e32 v9, 2, v9
	v_cndmask_b32_e32 v11, v11, v14, vcc
	v_cndmask_b32_e32 v10, v10, v12, vcc
	ds_bpermute_b32 v14, v9, v11
	ds_bpermute_b32 v12, v9, v10
	s_waitcnt lgkmcnt(1)
	v_mov_b32_e32 v13, v14
	s_waitcnt lgkmcnt(0)
	v_cmp_gt_f64_e32 vcc, v[10:11], v[12:13]
	v_cndmask_b32_e32 v14, v11, v14, vcc
	v_cndmask_b32_e32 v13, v10, v12, vcc
.LBB5_188:
	s_or_b64 exec, exec, s[22:23]
	s_barrier
.LBB5_189:
	v_mov_b32_e32 v9, 0
	ds_read_u8 v9, v9 offset:385
	v_cndmask_b32_e64 v12, v6, v14, s[0:1]
	v_cndmask_b32_e64 v11, v5, v13, s[0:1]
	s_waitcnt lgkmcnt(0)
	v_and_b32_e32 v9, 1, v9
	v_cmp_eq_u32_e64 s[10:11], 1, v9
.LBB5_190:
	s_and_b64 s[10:11], s[0:1], s[10:11]
	s_branch .LBB5_193
.LBB5_191:
                                        ; implicit-def: $sgpr10_sgpr11
                                        ; implicit-def: $vgpr11_vgpr12
	s_cbranch_execz .LBB5_193
; %bb.192:
	v_cndmask_b32_e64 v12, v6, v8, s[0:1]
	v_cndmask_b32_e64 v11, v5, v7, s[0:1]
	s_andn2_b64 s[10:11], s[10:11], exec
	s_and_b64 s[0:1], s[0:1], exec
	s_or_b64 s[10:11], s[10:11], s[0:1]
.LBB5_193:
	s_and_saveexec_b64 s[0:1], s[10:11]
	s_cbranch_execz .LBB5_195
; %bb.194:
	s_ashr_i32 s27, s26, 31
	s_lshl_b64 s[10:11], s[26:27], 3
	s_add_u32 s10, s64, s10
	s_addc_u32 s11, s65, s11
	v_mov_b32_e32 v5, s10
	v_mov_b32_e32 v6, s11
	flat_store_dwordx2 v[5:6], v[11:12]
.LBB5_195:
	s_or_b64 exec, exec, s[0:1]
	s_cmp_lg_u64 s[12:13], 0
	s_cbranch_scc1 .LBB5_10
.LBB5_196:
	s_load_dwordx2 s[0:1], s[4:5], 0x178
	s_add_u32 s3, s4, 0x178
	v_mov_b32_e32 v5, 0
	s_addc_u32 s7, s5, 0
	global_load_dword v6, v5, s[4:5] offset:390
	s_waitcnt lgkmcnt(0)
	s_cmp_lt_u32 s6, s0
	s_cselect_b32 s9, 12, 18
	s_add_u32 s10, s3, s9
	s_addc_u32 s11, s7, 0
	global_load_ushort v5, v5, s[10:11]
	v_mbcnt_lo_u32_b32 v7, -1, 0
	s_waitcnt vmcnt(0)
	v_readfirstlane_b32 s3, v6
	s_lshr_b32 s7, s3, 16
	s_and_b32 s3, s3, 0xffff
	v_readfirstlane_b32 s9, v5
	s_mul_i32 s3, s3, s9
	v_mul_lo_u32 v2, s3, v2
	s_mul_i32 s10, s3, s7
	s_ashr_i32 s11, s10, 31
	s_and_b32 s3, s10, 63
	v_mul_u32_u24_e32 v1, v1, v5
	s_cmp_lg_u32 s3, 0
	s_cselect_b64 s[12:13], -1, 0
	s_cmp_eq_u32 s3, 0
	v_add3_u32 v11, v1, v0, v2
	v_mbcnt_hi_u32_b32 v2, -1, v7
	s_cbranch_scc1 .LBB5_237
; %bb.197:
	v_and_b32_e32 v7, 64, v2
	v_xor_b32_e32 v5, 1, v11
	v_and_or_b32 v0, v5, 63, v7
	v_lshlrev_b32_e32 v1, 2, v0
	ds_bpermute_b32 v0, v1, v3
	ds_bpermute_b32 v1, v1, v4
	v_xor_b32_e32 v8, 2, v11
	v_and_or_b32 v6, v8, 63, v7
	v_cmp_gt_i32_e32 vcc, s10, v5
	v_lshlrev_b32_e32 v6, 2, v6
	s_waitcnt lgkmcnt(0)
	v_add_f64 v[0:1], v[3:4], v[0:1]
	v_xor_b32_e32 v9, 4, v11
	v_and_or_b32 v10, v9, 63, v7
	v_lshlrev_b32_e32 v10, 2, v10
	v_cndmask_b32_e32 v1, v4, v1, vcc
	v_cndmask_b32_e32 v0, v3, v0, vcc
	ds_bpermute_b32 v5, v6, v0
	ds_bpermute_b32 v6, v6, v1
	v_cmp_gt_i32_e32 vcc, s10, v8
	v_xor_b32_e32 v8, 8, v11
	s_waitcnt lgkmcnt(0)
	v_add_f64 v[5:6], v[0:1], v[5:6]
	v_cndmask_b32_e32 v1, v1, v6, vcc
	v_cndmask_b32_e32 v0, v0, v5, vcc
	ds_bpermute_b32 v5, v10, v0
	ds_bpermute_b32 v6, v10, v1
	v_and_or_b32 v10, v8, 63, v7
	v_cmp_gt_i32_e32 vcc, s10, v9
	v_lshlrev_b32_e32 v10, 2, v10
	v_xor_b32_e32 v9, 16, v11
	s_waitcnt lgkmcnt(0)
	v_add_f64 v[5:6], v[0:1], v[5:6]
	v_cndmask_b32_e32 v1, v1, v6, vcc
	v_cndmask_b32_e32 v0, v0, v5, vcc
	ds_bpermute_b32 v5, v10, v0
	ds_bpermute_b32 v6, v10, v1
	v_and_or_b32 v10, v9, 63, v7
	v_cmp_gt_i32_e32 vcc, s10, v8
	v_lshlrev_b32_e32 v10, 2, v10
	v_xor_b32_e32 v8, 32, v11
	s_waitcnt lgkmcnt(0)
	v_add_f64 v[5:6], v[0:1], v[5:6]
	v_and_or_b32 v7, v8, 63, v7
	v_lshlrev_b32_e32 v7, 2, v7
	v_cndmask_b32_e32 v1, v1, v6, vcc
	v_cndmask_b32_e32 v0, v0, v5, vcc
	ds_bpermute_b32 v5, v10, v0
	ds_bpermute_b32 v6, v10, v1
	v_cmp_gt_i32_e32 vcc, s10, v9
	s_waitcnt lgkmcnt(0)
	v_add_f64 v[5:6], v[0:1], v[5:6]
	v_cndmask_b32_e32 v1, v1, v6, vcc
	v_cndmask_b32_e32 v0, v0, v5, vcc
	ds_bpermute_b32 v5, v7, v0
	ds_bpermute_b32 v6, v7, v1
	v_cmp_gt_i32_e32 vcc, s10, v8
	s_waitcnt lgkmcnt(0)
	v_add_f64 v[5:6], v[0:1], v[5:6]
	v_cndmask_b32_e32 v1, v1, v6, vcc
	v_cndmask_b32_e32 v0, v0, v5, vcc
	s_cbranch_execnz .LBB5_199
.LBB5_198:
	v_and_b32_e32 v0, 64, v2
	v_add_u32_e32 v7, 64, v0
	v_xor_b32_e32 v0, 1, v2
	v_cmp_lt_i32_e32 vcc, v0, v7
	v_cndmask_b32_e32 v0, v2, v0, vcc
	v_lshlrev_b32_e32 v1, 2, v0
	ds_bpermute_b32 v0, v1, v3
	ds_bpermute_b32 v1, v1, v4
	v_xor_b32_e32 v5, 2, v2
	v_cmp_lt_i32_e32 vcc, v5, v7
	v_cndmask_b32_e32 v5, v2, v5, vcc
	v_lshlrev_b32_e32 v6, 2, v5
	s_waitcnt lgkmcnt(0)
	v_add_f64 v[0:1], v[3:4], v[0:1]
	ds_bpermute_b32 v5, v6, v0
	ds_bpermute_b32 v6, v6, v1
	s_waitcnt lgkmcnt(0)
	v_add_f64 v[0:1], v[0:1], v[5:6]
	v_xor_b32_e32 v5, 4, v2
	v_cmp_lt_i32_e32 vcc, v5, v7
	v_cndmask_b32_e32 v5, v2, v5, vcc
	v_lshlrev_b32_e32 v6, 2, v5
	ds_bpermute_b32 v5, v6, v0
	ds_bpermute_b32 v6, v6, v1
	s_waitcnt lgkmcnt(0)
	v_add_f64 v[0:1], v[0:1], v[5:6]
	v_xor_b32_e32 v5, 8, v2
	v_cmp_lt_i32_e32 vcc, v5, v7
	v_cndmask_b32_e32 v5, v2, v5, vcc
	v_lshlrev_b32_e32 v6, 2, v5
	;; [unrolled: 8-line block ×4, first 2 shown]
	ds_bpermute_b32 v5, v6, v0
	ds_bpermute_b32 v6, v6, v1
	s_waitcnt lgkmcnt(0)
	v_add_f64 v[0:1], v[0:1], v[5:6]
.LBB5_199:
	v_ashrrev_i32_e32 v12, 31, v11
	s_load_dword s3, s[4:5], 0x180
	v_lshrrev_b32_e32 v5, 26, v12
	v_add_u32_e32 v5, v11, v5
	v_ashrrev_i32_e32 v13, 6, v5
	v_and_b32_e32 v5, 0xffffffc0, v5
	v_sub_u32_e32 v5, v11, v5
	s_cmp_gt_i32 s10, 64
	s_cselect_b64 s[4:5], -1, 0
	s_cmpk_lt_i32 s10, 0x41
	v_ashrrev_i32_e32 v6, 31, v5
	s_cbranch_scc1 .LBB5_207
; %bb.200:
	v_cmp_eq_u32_e32 vcc, 0, v5
	s_and_saveexec_b64 s[20:21], vcc
; %bb.201:
	v_lshlrev_b32_e32 v7, 3, v13
	ds_write_b64 v7, v[0:1] offset:256
; %bb.202:
	s_or_b64 exec, exec, s[20:21]
	v_add_co_u32_e32 v7, vcc, 63, v11
	v_addc_co_u32_e32 v8, vcc, 0, v12, vcc
	s_mov_b64 s[20:21], 0x7f
	v_cmp_gt_u64_e32 vcc, s[20:21], v[7:8]
	s_waitcnt lgkmcnt(0)
	s_barrier
	s_and_saveexec_b64 s[20:21], vcc
	s_cbranch_execz .LBB5_206
; %bb.203:
	v_lshlrev_b64 v[0:1], 6, v[5:6]
	v_cmp_gt_i64_e32 vcc, s[10:11], v[0:1]
	v_mov_b32_e32 v0, s16
	v_mov_b32_e32 v1, s17
	s_and_saveexec_b64 s[22:23], vcc
; %bb.204:
	v_lshlrev_b32_e32 v0, 3, v5
	ds_read_b64 v[0:1], v0 offset:256
; %bb.205:
	s_or_b64 exec, exec, s[22:23]
	v_and_b32_e32 v7, 64, v2
	v_add_u32_e32 v9, 64, v7
	v_xor_b32_e32 v7, 1, v2
	v_cmp_lt_i32_e32 vcc, v7, v9
	v_cndmask_b32_e32 v7, v2, v7, vcc
	v_lshlrev_b32_e32 v8, 2, v7
	s_waitcnt lgkmcnt(0)
	ds_bpermute_b32 v7, v8, v0
	ds_bpermute_b32 v8, v8, v1
	s_waitcnt lgkmcnt(0)
	v_add_f64 v[0:1], v[0:1], v[7:8]
	v_xor_b32_e32 v7, 2, v2
	v_cmp_lt_i32_e32 vcc, v7, v9
	v_cndmask_b32_e32 v7, v2, v7, vcc
	v_lshlrev_b32_e32 v8, 2, v7
	ds_bpermute_b32 v7, v8, v0
	ds_bpermute_b32 v8, v8, v1
	s_waitcnt lgkmcnt(0)
	v_add_f64 v[0:1], v[0:1], v[7:8]
	v_xor_b32_e32 v7, 4, v2
	v_cmp_lt_i32_e32 vcc, v7, v9
	v_cndmask_b32_e32 v7, v2, v7, vcc
	v_lshlrev_b32_e32 v8, 2, v7
	;; [unrolled: 8-line block ×3, first 2 shown]
	ds_bpermute_b32 v7, v8, v0
	ds_bpermute_b32 v8, v8, v1
	s_waitcnt lgkmcnt(0)
	v_add_f64 v[0:1], v[0:1], v[7:8]
.LBB5_206:
	s_or_b64 exec, exec, s[20:21]
	s_barrier
.LBB5_207:
	s_mul_i32 s2, s0, s2
	s_mul_i32 s0, s1, s0
	s_add_i32 s2, s2, s6
	s_mul_i32 s1, s0, s8
	s_add_i32 s1, s2, s1
	s_waitcnt lgkmcnt(0)
	s_mul_i32 s6, s3, s0
	s_ashr_i32 s0, s1, 31
	s_lshr_b32 s0, s0, 27
	s_add_i32 s8, s1, s0
	s_and_b32 s0, s8, 0xffffffe0
	s_sub_i32 s2, s1, s0
	s_ashr_i32 s0, s6, 31
	s_lshr_b32 s0, s0, 27
	s_add_i32 s0, s6, s0
	s_ashr_i32 s3, s0, 5
	s_andn2_b32 s0, s0, 31
	s_sub_i32 s0, s6, s0
	s_cmp_lt_i32 s2, s0
	s_cselect_b64 s[0:1], -1, 0
	s_cmp_lg_u64 s[0:1], 0
	s_addc_u32 s3, s3, 0
	s_cmp_gt_u32 s3, 1
	v_cmp_eq_u32_e64 s[0:1], 0, v11
	s_cbranch_scc0 .LBB5_228
; %bb.208:
	s_add_i32 s6, s6, 31
	s_ashr_i32 s7, s6, 31
	s_lshr_b32 s7, s7, 27
	s_add_i32 s6, s6, s7
	s_ashr_i32 s20, s6, 5
	s_mul_i32 s20, s20, s2
	s_and_saveexec_b64 s[6:7], s[0:1]
	s_cbranch_execz .LBB5_210
; %bb.209:
	s_ashr_i32 s9, s8, 5
	s_add_i32 s22, s20, s9
	s_ashr_i32 s23, s22, 31
	s_lshl_b32 s8, s2, 3
	s_lshl_b64 s[22:23], s[22:23], 3
	s_add_u32 s22, s34, s22
	s_addc_u32 s23, s35, s23
	s_ashr_i32 s9, s8, 31
	s_lshl_b64 s[8:9], s[8:9], 2
	v_mov_b32_e32 v7, s22
	s_add_u32 s8, s18, s8
	v_mov_b32_e32 v8, s23
	s_addc_u32 s9, s19, s9
	s_add_i32 s18, s3, -1
	flat_store_dwordx2 v[7:8], v[0:1]
	v_mov_b32_e32 v7, 0
	v_mov_b32_e32 v8, s18
	s_waitcnt vmcnt(0) lgkmcnt(0)
	global_atomic_inc v8, v7, v8, s[8:9] glc
	s_waitcnt vmcnt(0)
	v_cmp_eq_u32_e32 vcc, s18, v8
	v_cndmask_b32_e64 v8, 0, 1, vcc
	ds_write_b8 v7, v8 offset:386
.LBB5_210:
	s_or_b64 exec, exec, s[6:7]
	v_mov_b32_e32 v7, 0
	s_waitcnt lgkmcnt(0)
	s_barrier
	ds_read_u8 v7, v7 offset:386
	s_mov_b64 s[6:7], 0
	s_waitcnt lgkmcnt(0)
	v_cmp_eq_u32_e32 vcc, 0, v7
	v_mov_b32_e32 v8, v4
	v_mov_b32_e32 v7, v3
	s_cbranch_vccnz .LBB5_227
; %bb.211:
	v_mov_b32_e32 v7, s16
	v_cmp_gt_u32_e32 vcc, s3, v11
	v_mov_b32_e32 v8, s17
	s_and_saveexec_b64 s[6:7], vcc
	s_cbranch_execz .LBB5_215
; %bb.212:
	v_mov_b32_e32 v7, s16
	s_mov_b64 s[8:9], 0
	v_mov_b32_e32 v8, s17
	v_mov_b32_e32 v10, 0
	;; [unrolled: 1-line block ×4, first 2 shown]
.LBB5_213:                              ; =>This Inner Loop Header: Depth=1
	v_add_u32_e32 v9, s20, v15
	v_lshlrev_b64 v[16:17], 3, v[9:10]
	v_add_u32_e32 v15, s10, v15
	v_add_co_u32_e32 v16, vcc, s34, v16
	v_addc_co_u32_e32 v17, vcc, v14, v17, vcc
	flat_load_dwordx2 v[16:17], v[16:17] glc
	v_cmp_le_u32_e32 vcc, s3, v15
	s_or_b64 s[8:9], vcc, s[8:9]
	s_waitcnt vmcnt(0) lgkmcnt(0)
	v_add_f64 v[7:8], v[7:8], v[16:17]
	s_andn2_b64 exec, exec, s[8:9]
	s_cbranch_execnz .LBB5_213
; %bb.214:
	s_or_b64 exec, exec, s[8:9]
.LBB5_215:
	s_or_b64 exec, exec, s[6:7]
	s_andn2_b64 vcc, exec, s[12:13]
	s_cbranch_vccnz .LBB5_243
; %bb.216:
	v_and_b32_e32 v16, 64, v2
	v_xor_b32_e32 v14, 1, v11
	v_and_or_b32 v9, v14, 63, v16
	v_lshlrev_b32_e32 v10, 2, v9
	ds_bpermute_b32 v9, v10, v7
	ds_bpermute_b32 v10, v10, v8
	v_xor_b32_e32 v17, 2, v11
	v_and_or_b32 v15, v17, 63, v16
	v_cmp_gt_i32_e32 vcc, s10, v14
	v_lshlrev_b32_e32 v15, 2, v15
	s_waitcnt lgkmcnt(0)
	v_add_f64 v[9:10], v[7:8], v[9:10]
	v_xor_b32_e32 v18, 4, v11
	v_and_or_b32 v19, v18, 63, v16
	v_lshlrev_b32_e32 v19, 2, v19
	v_cndmask_b32_e32 v10, v8, v10, vcc
	v_cndmask_b32_e32 v9, v7, v9, vcc
	ds_bpermute_b32 v14, v15, v9
	ds_bpermute_b32 v15, v15, v10
	v_cmp_gt_i32_e32 vcc, s10, v17
	v_xor_b32_e32 v17, 8, v11
	s_waitcnt lgkmcnt(0)
	v_add_f64 v[14:15], v[9:10], v[14:15]
	v_cndmask_b32_e32 v10, v10, v15, vcc
	v_cndmask_b32_e32 v9, v9, v14, vcc
	ds_bpermute_b32 v14, v19, v9
	ds_bpermute_b32 v15, v19, v10
	v_and_or_b32 v19, v17, 63, v16
	v_cmp_gt_i32_e32 vcc, s10, v18
	v_lshlrev_b32_e32 v19, 2, v19
	v_xor_b32_e32 v18, 16, v11
	s_waitcnt lgkmcnt(0)
	v_add_f64 v[14:15], v[9:10], v[14:15]
	v_cndmask_b32_e32 v10, v10, v15, vcc
	v_cndmask_b32_e32 v9, v9, v14, vcc
	ds_bpermute_b32 v14, v19, v9
	ds_bpermute_b32 v15, v19, v10
	v_and_or_b32 v19, v18, 63, v16
	v_cmp_gt_i32_e32 vcc, s10, v17
	v_lshlrev_b32_e32 v19, 2, v19
	v_xor_b32_e32 v17, 32, v11
	s_waitcnt lgkmcnt(0)
	v_add_f64 v[14:15], v[9:10], v[14:15]
	v_and_or_b32 v16, v17, 63, v16
	v_lshlrev_b32_e32 v16, 2, v16
	v_cndmask_b32_e32 v10, v10, v15, vcc
	v_cndmask_b32_e32 v9, v9, v14, vcc
	ds_bpermute_b32 v14, v19, v9
	ds_bpermute_b32 v15, v19, v10
	v_cmp_gt_i32_e32 vcc, s10, v18
	s_waitcnt lgkmcnt(0)
	v_add_f64 v[14:15], v[9:10], v[14:15]
	v_cndmask_b32_e32 v10, v10, v15, vcc
	v_cndmask_b32_e32 v9, v9, v14, vcc
	ds_bpermute_b32 v14, v16, v9
	ds_bpermute_b32 v15, v16, v10
	v_cmp_gt_i32_e32 vcc, s10, v17
	s_waitcnt lgkmcnt(0)
	v_add_f64 v[14:15], v[9:10], v[14:15]
	v_cndmask_b32_e32 v10, v10, v15, vcc
	v_cndmask_b32_e32 v9, v9, v14, vcc
	s_cbranch_execnz .LBB5_218
.LBB5_217:
	v_and_b32_e32 v9, 64, v2
	v_add_u32_e32 v14, 64, v9
	v_xor_b32_e32 v9, 1, v2
	v_cmp_lt_i32_e32 vcc, v9, v14
	v_cndmask_b32_e32 v9, v2, v9, vcc
	v_lshlrev_b32_e32 v10, 2, v9
	ds_bpermute_b32 v9, v10, v7
	ds_bpermute_b32 v10, v10, v8
	s_waitcnt lgkmcnt(0)
	v_add_f64 v[7:8], v[7:8], v[9:10]
	v_xor_b32_e32 v9, 2, v2
	v_cmp_lt_i32_e32 vcc, v9, v14
	v_cndmask_b32_e32 v9, v2, v9, vcc
	v_lshlrev_b32_e32 v10, 2, v9
	ds_bpermute_b32 v9, v10, v7
	ds_bpermute_b32 v10, v10, v8
	s_waitcnt lgkmcnt(0)
	v_add_f64 v[7:8], v[7:8], v[9:10]
	;; [unrolled: 8-line block ×6, first 2 shown]
.LBB5_218:
	s_andn2_b64 vcc, exec, s[4:5]
	s_cbranch_vccnz .LBB5_226
; %bb.219:
	v_cmp_eq_u32_e32 vcc, 0, v5
	s_and_saveexec_b64 s[4:5], vcc
; %bb.220:
	v_lshlrev_b32_e32 v7, 3, v13
	ds_write_b64 v7, v[9:10] offset:256
; %bb.221:
	s_or_b64 exec, exec, s[4:5]
	v_add_co_u32_e32 v7, vcc, 63, v11
	v_addc_co_u32_e32 v8, vcc, 0, v12, vcc
	s_mov_b64 s[4:5], 0x7f
	v_cmp_gt_u64_e32 vcc, s[4:5], v[7:8]
	s_waitcnt lgkmcnt(0)
	s_barrier
	s_and_saveexec_b64 s[4:5], vcc
	s_cbranch_execz .LBB5_225
; %bb.222:
	v_lshlrev_b64 v[6:7], 6, v[5:6]
	v_cmp_gt_i64_e32 vcc, s[10:11], v[6:7]
	v_mov_b32_e32 v6, s16
	v_mov_b32_e32 v7, s17
	s_and_saveexec_b64 s[6:7], vcc
; %bb.223:
	v_lshlrev_b32_e32 v5, 3, v5
	ds_read_b64 v[6:7], v5 offset:256
; %bb.224:
	s_or_b64 exec, exec, s[6:7]
	v_and_b32_e32 v5, 64, v2
	v_add_u32_e32 v10, 64, v5
	v_xor_b32_e32 v5, 1, v2
	v_cmp_lt_i32_e32 vcc, v5, v10
	v_cndmask_b32_e32 v5, v2, v5, vcc
	v_lshlrev_b32_e32 v5, 2, v5
	s_waitcnt lgkmcnt(0)
	ds_bpermute_b32 v8, v5, v6
	ds_bpermute_b32 v9, v5, v7
	s_waitcnt lgkmcnt(0)
	v_add_f64 v[5:6], v[6:7], v[8:9]
	v_xor_b32_e32 v7, 2, v2
	v_cmp_lt_i32_e32 vcc, v7, v10
	v_cndmask_b32_e32 v7, v2, v7, vcc
	v_lshlrev_b32_e32 v8, 2, v7
	ds_bpermute_b32 v7, v8, v5
	ds_bpermute_b32 v8, v8, v6
	s_waitcnt lgkmcnt(0)
	v_add_f64 v[5:6], v[5:6], v[7:8]
	v_xor_b32_e32 v7, 4, v2
	v_cmp_lt_i32_e32 vcc, v7, v10
	v_cndmask_b32_e32 v7, v2, v7, vcc
	v_lshlrev_b32_e32 v8, 2, v7
	ds_bpermute_b32 v7, v8, v5
	ds_bpermute_b32 v8, v8, v6
	s_waitcnt lgkmcnt(0)
	v_add_f64 v[5:6], v[5:6], v[7:8]
	v_xor_b32_e32 v7, 8, v2
	v_cmp_lt_i32_e32 vcc, v7, v10
	v_cndmask_b32_e32 v2, v2, v7, vcc
	v_lshlrev_b32_e32 v2, 2, v2
	ds_bpermute_b32 v7, v2, v5
	ds_bpermute_b32 v8, v2, v6
	s_waitcnt lgkmcnt(0)
	v_add_f64 v[9:10], v[5:6], v[7:8]
.LBB5_225:
	s_or_b64 exec, exec, s[4:5]
	s_barrier
.LBB5_226:
	v_mov_b32_e32 v2, 0
	ds_read_u8 v2, v2 offset:386
	v_cndmask_b32_e64 v8, v4, v10, s[0:1]
	v_cndmask_b32_e64 v7, v3, v9, s[0:1]
	s_waitcnt lgkmcnt(0)
	v_and_b32_e32 v2, 1, v2
	v_cmp_eq_u32_e64 s[6:7], 1, v2
.LBB5_227:
	s_and_b64 s[4:5], s[0:1], s[6:7]
	s_branch .LBB5_230
.LBB5_228:
                                        ; implicit-def: $sgpr4_sgpr5
                                        ; implicit-def: $vgpr7_vgpr8
	s_cbranch_execz .LBB5_230
; %bb.229:
	v_cndmask_b32_e64 v8, v4, v1, s[0:1]
	v_cndmask_b32_e64 v7, v3, v0, s[0:1]
	s_andn2_b64 s[4:5], s[4:5], exec
	s_and_b64 s[0:1], s[0:1], exec
	s_or_b64 s[4:5], s[4:5], s[0:1]
.LBB5_230:
	s_and_saveexec_b64 s[0:1], s[4:5]
	s_cbranch_execz .LBB5_10
; %bb.231:
	s_ashr_i32 s3, s2, 31
	s_lshl_b64 s[0:1], s[2:3], 3
	s_add_u32 s0, s14, s0
	s_addc_u32 s1, s15, s1
	v_mov_b32_e32 v0, s0
	v_mov_b32_e32 v1, s1
	flat_store_dwordx2 v[0:1], v[7:8]
	s_endpgm
.LBB5_232:
                                        ; implicit-def: $vgpr15_vgpr16
	s_branch .LBB5_13
.LBB5_233:
                                        ; implicit-def: $vgpr13_vgpr14
	s_branch .LBB5_50
.LBB5_234:
                                        ; implicit-def: $vgpr11_vgpr12
	s_branch .LBB5_87
.LBB5_235:
                                        ; implicit-def: $vgpr9_vgpr10
	s_branch .LBB5_124
.LBB5_236:
                                        ; implicit-def: $vgpr7_vgpr8
	s_branch .LBB5_161
.LBB5_237:
                                        ; implicit-def: $vgpr0_vgpr1
	s_branch .LBB5_198
.LBB5_238:
                                        ; implicit-def: $vgpr21_vgpr22
	s_branch .LBB5_32
.LBB5_239:
                                        ; implicit-def: $vgpr19_vgpr20
	s_branch .LBB5_69
.LBB5_240:
                                        ; implicit-def: $vgpr17_vgpr18
	s_branch .LBB5_106
.LBB5_241:
                                        ; implicit-def: $vgpr15_vgpr16
	s_branch .LBB5_143
.LBB5_242:
                                        ; implicit-def: $vgpr13_vgpr14
	s_branch .LBB5_180
.LBB5_243:
                                        ; implicit-def: $vgpr9_vgpr10
	s_branch .LBB5_217
	.section	.rodata,"a",@progbits
	.p2align	6, 0x0
	.amdhsa_kernel _ZN4RAJA6policy3hip4impl18forallp_hip_kernelINS1_8hip_execINS_17iteration_mapping11StridedLoopILm0EEENS_3hip11IndexGlobalILNS_9named_dimE0ELi256ELi0EEENS8_40AvoidDeviceMaxThreadOccupancyConcretizerINS8_34FractionOffsetOccupancyConcretizerINS_8FractionImLm1ELm1EEELln1EEEEELb1EEENS_9Iterators16numeric_iteratorIllPlEEZN8rajaperf5basic13REDUCE_STRUCT17runHipVariantRAJAILm256ENSN_13gpu_algorithm19block_device_helperENSN_11gpu_mapping40global_loop_occupancy_grid_stride_helperEEEvNSN_9VariantIDEEUllE_lNS_4expt15ForallParamPackIJEEES7_SB_TnNSt9enable_ifIXaaaasr3std10is_base_ofINS5_15StridedLoopBaseET4_EE5valuesr3std10is_base_ofINS5_15UnsizedLoopBaseES12_EE5valuegtsrT5_10block_sizeLi0EEmE4typeELm256EEEvT1_T0_T2_T3_
		.amdhsa_group_segment_fixed_size 387
		.amdhsa_private_segment_fixed_size 0
		.amdhsa_kernarg_size 632
		.amdhsa_user_sgpr_count 6
		.amdhsa_user_sgpr_private_segment_buffer 1
		.amdhsa_user_sgpr_dispatch_ptr 0
		.amdhsa_user_sgpr_queue_ptr 0
		.amdhsa_user_sgpr_kernarg_segment_ptr 1
		.amdhsa_user_sgpr_dispatch_id 0
		.amdhsa_user_sgpr_flat_scratch_init 0
		.amdhsa_user_sgpr_private_segment_size 0
		.amdhsa_uses_dynamic_stack 0
		.amdhsa_system_sgpr_private_segment_wavefront_offset 0
		.amdhsa_system_sgpr_workgroup_id_x 1
		.amdhsa_system_sgpr_workgroup_id_y 1
		.amdhsa_system_sgpr_workgroup_id_z 1
		.amdhsa_system_sgpr_workgroup_info 0
		.amdhsa_system_vgpr_workitem_id 2
		.amdhsa_next_free_vgpr 33
		.amdhsa_next_free_sgpr 84
		.amdhsa_reserve_vcc 1
		.amdhsa_reserve_flat_scratch 0
		.amdhsa_float_round_mode_32 0
		.amdhsa_float_round_mode_16_64 0
		.amdhsa_float_denorm_mode_32 3
		.amdhsa_float_denorm_mode_16_64 3
		.amdhsa_dx10_clamp 1
		.amdhsa_ieee_mode 1
		.amdhsa_fp16_overflow 0
		.amdhsa_exception_fp_ieee_invalid_op 0
		.amdhsa_exception_fp_denorm_src 0
		.amdhsa_exception_fp_ieee_div_zero 0
		.amdhsa_exception_fp_ieee_overflow 0
		.amdhsa_exception_fp_ieee_underflow 0
		.amdhsa_exception_fp_ieee_inexact 0
		.amdhsa_exception_int_div_zero 0
	.end_amdhsa_kernel
	.section	.text._ZN4RAJA6policy3hip4impl18forallp_hip_kernelINS1_8hip_execINS_17iteration_mapping11StridedLoopILm0EEENS_3hip11IndexGlobalILNS_9named_dimE0ELi256ELi0EEENS8_40AvoidDeviceMaxThreadOccupancyConcretizerINS8_34FractionOffsetOccupancyConcretizerINS_8FractionImLm1ELm1EEELln1EEEEELb1EEENS_9Iterators16numeric_iteratorIllPlEEZN8rajaperf5basic13REDUCE_STRUCT17runHipVariantRAJAILm256ENSN_13gpu_algorithm19block_device_helperENSN_11gpu_mapping40global_loop_occupancy_grid_stride_helperEEEvNSN_9VariantIDEEUllE_lNS_4expt15ForallParamPackIJEEES7_SB_TnNSt9enable_ifIXaaaasr3std10is_base_ofINS5_15StridedLoopBaseET4_EE5valuesr3std10is_base_ofINS5_15UnsizedLoopBaseES12_EE5valuegtsrT5_10block_sizeLi0EEmE4typeELm256EEEvT1_T0_T2_T3_,"axG",@progbits,_ZN4RAJA6policy3hip4impl18forallp_hip_kernelINS1_8hip_execINS_17iteration_mapping11StridedLoopILm0EEENS_3hip11IndexGlobalILNS_9named_dimE0ELi256ELi0EEENS8_40AvoidDeviceMaxThreadOccupancyConcretizerINS8_34FractionOffsetOccupancyConcretizerINS_8FractionImLm1ELm1EEELln1EEEEELb1EEENS_9Iterators16numeric_iteratorIllPlEEZN8rajaperf5basic13REDUCE_STRUCT17runHipVariantRAJAILm256ENSN_13gpu_algorithm19block_device_helperENSN_11gpu_mapping40global_loop_occupancy_grid_stride_helperEEEvNSN_9VariantIDEEUllE_lNS_4expt15ForallParamPackIJEEES7_SB_TnNSt9enable_ifIXaaaasr3std10is_base_ofINS5_15StridedLoopBaseET4_EE5valuesr3std10is_base_ofINS5_15UnsizedLoopBaseES12_EE5valuegtsrT5_10block_sizeLi0EEmE4typeELm256EEEvT1_T0_T2_T3_,comdat
.Lfunc_end5:
	.size	_ZN4RAJA6policy3hip4impl18forallp_hip_kernelINS1_8hip_execINS_17iteration_mapping11StridedLoopILm0EEENS_3hip11IndexGlobalILNS_9named_dimE0ELi256ELi0EEENS8_40AvoidDeviceMaxThreadOccupancyConcretizerINS8_34FractionOffsetOccupancyConcretizerINS_8FractionImLm1ELm1EEELln1EEEEELb1EEENS_9Iterators16numeric_iteratorIllPlEEZN8rajaperf5basic13REDUCE_STRUCT17runHipVariantRAJAILm256ENSN_13gpu_algorithm19block_device_helperENSN_11gpu_mapping40global_loop_occupancy_grid_stride_helperEEEvNSN_9VariantIDEEUllE_lNS_4expt15ForallParamPackIJEEES7_SB_TnNSt9enable_ifIXaaaasr3std10is_base_ofINS5_15StridedLoopBaseET4_EE5valuesr3std10is_base_ofINS5_15UnsizedLoopBaseES12_EE5valuegtsrT5_10block_sizeLi0EEmE4typeELm256EEEvT1_T0_T2_T3_, .Lfunc_end5-_ZN4RAJA6policy3hip4impl18forallp_hip_kernelINS1_8hip_execINS_17iteration_mapping11StridedLoopILm0EEENS_3hip11IndexGlobalILNS_9named_dimE0ELi256ELi0EEENS8_40AvoidDeviceMaxThreadOccupancyConcretizerINS8_34FractionOffsetOccupancyConcretizerINS_8FractionImLm1ELm1EEELln1EEEEELb1EEENS_9Iterators16numeric_iteratorIllPlEEZN8rajaperf5basic13REDUCE_STRUCT17runHipVariantRAJAILm256ENSN_13gpu_algorithm19block_device_helperENSN_11gpu_mapping40global_loop_occupancy_grid_stride_helperEEEvNSN_9VariantIDEEUllE_lNS_4expt15ForallParamPackIJEEES7_SB_TnNSt9enable_ifIXaaaasr3std10is_base_ofINS5_15StridedLoopBaseET4_EE5valuesr3std10is_base_ofINS5_15UnsizedLoopBaseES12_EE5valuegtsrT5_10block_sizeLi0EEmE4typeELm256EEEvT1_T0_T2_T3_
                                        ; -- End function
	.set _ZN4RAJA6policy3hip4impl18forallp_hip_kernelINS1_8hip_execINS_17iteration_mapping11StridedLoopILm0EEENS_3hip11IndexGlobalILNS_9named_dimE0ELi256ELi0EEENS8_40AvoidDeviceMaxThreadOccupancyConcretizerINS8_34FractionOffsetOccupancyConcretizerINS_8FractionImLm1ELm1EEELln1EEEEELb1EEENS_9Iterators16numeric_iteratorIllPlEEZN8rajaperf5basic13REDUCE_STRUCT17runHipVariantRAJAILm256ENSN_13gpu_algorithm19block_device_helperENSN_11gpu_mapping40global_loop_occupancy_grid_stride_helperEEEvNSN_9VariantIDEEUllE_lNS_4expt15ForallParamPackIJEEES7_SB_TnNSt9enable_ifIXaaaasr3std10is_base_ofINS5_15StridedLoopBaseET4_EE5valuesr3std10is_base_ofINS5_15UnsizedLoopBaseES12_EE5valuegtsrT5_10block_sizeLi0EEmE4typeELm256EEEvT1_T0_T2_T3_.num_vgpr, 33
	.set _ZN4RAJA6policy3hip4impl18forallp_hip_kernelINS1_8hip_execINS_17iteration_mapping11StridedLoopILm0EEENS_3hip11IndexGlobalILNS_9named_dimE0ELi256ELi0EEENS8_40AvoidDeviceMaxThreadOccupancyConcretizerINS8_34FractionOffsetOccupancyConcretizerINS_8FractionImLm1ELm1EEELln1EEEEELb1EEENS_9Iterators16numeric_iteratorIllPlEEZN8rajaperf5basic13REDUCE_STRUCT17runHipVariantRAJAILm256ENSN_13gpu_algorithm19block_device_helperENSN_11gpu_mapping40global_loop_occupancy_grid_stride_helperEEEvNSN_9VariantIDEEUllE_lNS_4expt15ForallParamPackIJEEES7_SB_TnNSt9enable_ifIXaaaasr3std10is_base_ofINS5_15StridedLoopBaseET4_EE5valuesr3std10is_base_ofINS5_15UnsizedLoopBaseES12_EE5valuegtsrT5_10block_sizeLi0EEmE4typeELm256EEEvT1_T0_T2_T3_.num_agpr, 0
	.set _ZN4RAJA6policy3hip4impl18forallp_hip_kernelINS1_8hip_execINS_17iteration_mapping11StridedLoopILm0EEENS_3hip11IndexGlobalILNS_9named_dimE0ELi256ELi0EEENS8_40AvoidDeviceMaxThreadOccupancyConcretizerINS8_34FractionOffsetOccupancyConcretizerINS_8FractionImLm1ELm1EEELln1EEEEELb1EEENS_9Iterators16numeric_iteratorIllPlEEZN8rajaperf5basic13REDUCE_STRUCT17runHipVariantRAJAILm256ENSN_13gpu_algorithm19block_device_helperENSN_11gpu_mapping40global_loop_occupancy_grid_stride_helperEEEvNSN_9VariantIDEEUllE_lNS_4expt15ForallParamPackIJEEES7_SB_TnNSt9enable_ifIXaaaasr3std10is_base_ofINS5_15StridedLoopBaseET4_EE5valuesr3std10is_base_ofINS5_15UnsizedLoopBaseES12_EE5valuegtsrT5_10block_sizeLi0EEmE4typeELm256EEEvT1_T0_T2_T3_.numbered_sgpr, 84
	.set _ZN4RAJA6policy3hip4impl18forallp_hip_kernelINS1_8hip_execINS_17iteration_mapping11StridedLoopILm0EEENS_3hip11IndexGlobalILNS_9named_dimE0ELi256ELi0EEENS8_40AvoidDeviceMaxThreadOccupancyConcretizerINS8_34FractionOffsetOccupancyConcretizerINS_8FractionImLm1ELm1EEELln1EEEEELb1EEENS_9Iterators16numeric_iteratorIllPlEEZN8rajaperf5basic13REDUCE_STRUCT17runHipVariantRAJAILm256ENSN_13gpu_algorithm19block_device_helperENSN_11gpu_mapping40global_loop_occupancy_grid_stride_helperEEEvNSN_9VariantIDEEUllE_lNS_4expt15ForallParamPackIJEEES7_SB_TnNSt9enable_ifIXaaaasr3std10is_base_ofINS5_15StridedLoopBaseET4_EE5valuesr3std10is_base_ofINS5_15UnsizedLoopBaseES12_EE5valuegtsrT5_10block_sizeLi0EEmE4typeELm256EEEvT1_T0_T2_T3_.num_named_barrier, 0
	.set _ZN4RAJA6policy3hip4impl18forallp_hip_kernelINS1_8hip_execINS_17iteration_mapping11StridedLoopILm0EEENS_3hip11IndexGlobalILNS_9named_dimE0ELi256ELi0EEENS8_40AvoidDeviceMaxThreadOccupancyConcretizerINS8_34FractionOffsetOccupancyConcretizerINS_8FractionImLm1ELm1EEELln1EEEEELb1EEENS_9Iterators16numeric_iteratorIllPlEEZN8rajaperf5basic13REDUCE_STRUCT17runHipVariantRAJAILm256ENSN_13gpu_algorithm19block_device_helperENSN_11gpu_mapping40global_loop_occupancy_grid_stride_helperEEEvNSN_9VariantIDEEUllE_lNS_4expt15ForallParamPackIJEEES7_SB_TnNSt9enable_ifIXaaaasr3std10is_base_ofINS5_15StridedLoopBaseET4_EE5valuesr3std10is_base_ofINS5_15UnsizedLoopBaseES12_EE5valuegtsrT5_10block_sizeLi0EEmE4typeELm256EEEvT1_T0_T2_T3_.private_seg_size, 0
	.set _ZN4RAJA6policy3hip4impl18forallp_hip_kernelINS1_8hip_execINS_17iteration_mapping11StridedLoopILm0EEENS_3hip11IndexGlobalILNS_9named_dimE0ELi256ELi0EEENS8_40AvoidDeviceMaxThreadOccupancyConcretizerINS8_34FractionOffsetOccupancyConcretizerINS_8FractionImLm1ELm1EEELln1EEEEELb1EEENS_9Iterators16numeric_iteratorIllPlEEZN8rajaperf5basic13REDUCE_STRUCT17runHipVariantRAJAILm256ENSN_13gpu_algorithm19block_device_helperENSN_11gpu_mapping40global_loop_occupancy_grid_stride_helperEEEvNSN_9VariantIDEEUllE_lNS_4expt15ForallParamPackIJEEES7_SB_TnNSt9enable_ifIXaaaasr3std10is_base_ofINS5_15StridedLoopBaseET4_EE5valuesr3std10is_base_ofINS5_15UnsizedLoopBaseES12_EE5valuegtsrT5_10block_sizeLi0EEmE4typeELm256EEEvT1_T0_T2_T3_.uses_vcc, 1
	.set _ZN4RAJA6policy3hip4impl18forallp_hip_kernelINS1_8hip_execINS_17iteration_mapping11StridedLoopILm0EEENS_3hip11IndexGlobalILNS_9named_dimE0ELi256ELi0EEENS8_40AvoidDeviceMaxThreadOccupancyConcretizerINS8_34FractionOffsetOccupancyConcretizerINS_8FractionImLm1ELm1EEELln1EEEEELb1EEENS_9Iterators16numeric_iteratorIllPlEEZN8rajaperf5basic13REDUCE_STRUCT17runHipVariantRAJAILm256ENSN_13gpu_algorithm19block_device_helperENSN_11gpu_mapping40global_loop_occupancy_grid_stride_helperEEEvNSN_9VariantIDEEUllE_lNS_4expt15ForallParamPackIJEEES7_SB_TnNSt9enable_ifIXaaaasr3std10is_base_ofINS5_15StridedLoopBaseET4_EE5valuesr3std10is_base_ofINS5_15UnsizedLoopBaseES12_EE5valuegtsrT5_10block_sizeLi0EEmE4typeELm256EEEvT1_T0_T2_T3_.uses_flat_scratch, 0
	.set _ZN4RAJA6policy3hip4impl18forallp_hip_kernelINS1_8hip_execINS_17iteration_mapping11StridedLoopILm0EEENS_3hip11IndexGlobalILNS_9named_dimE0ELi256ELi0EEENS8_40AvoidDeviceMaxThreadOccupancyConcretizerINS8_34FractionOffsetOccupancyConcretizerINS_8FractionImLm1ELm1EEELln1EEEEELb1EEENS_9Iterators16numeric_iteratorIllPlEEZN8rajaperf5basic13REDUCE_STRUCT17runHipVariantRAJAILm256ENSN_13gpu_algorithm19block_device_helperENSN_11gpu_mapping40global_loop_occupancy_grid_stride_helperEEEvNSN_9VariantIDEEUllE_lNS_4expt15ForallParamPackIJEEES7_SB_TnNSt9enable_ifIXaaaasr3std10is_base_ofINS5_15StridedLoopBaseET4_EE5valuesr3std10is_base_ofINS5_15UnsizedLoopBaseES12_EE5valuegtsrT5_10block_sizeLi0EEmE4typeELm256EEEvT1_T0_T2_T3_.has_dyn_sized_stack, 0
	.set _ZN4RAJA6policy3hip4impl18forallp_hip_kernelINS1_8hip_execINS_17iteration_mapping11StridedLoopILm0EEENS_3hip11IndexGlobalILNS_9named_dimE0ELi256ELi0EEENS8_40AvoidDeviceMaxThreadOccupancyConcretizerINS8_34FractionOffsetOccupancyConcretizerINS_8FractionImLm1ELm1EEELln1EEEEELb1EEENS_9Iterators16numeric_iteratorIllPlEEZN8rajaperf5basic13REDUCE_STRUCT17runHipVariantRAJAILm256ENSN_13gpu_algorithm19block_device_helperENSN_11gpu_mapping40global_loop_occupancy_grid_stride_helperEEEvNSN_9VariantIDEEUllE_lNS_4expt15ForallParamPackIJEEES7_SB_TnNSt9enable_ifIXaaaasr3std10is_base_ofINS5_15StridedLoopBaseET4_EE5valuesr3std10is_base_ofINS5_15UnsizedLoopBaseES12_EE5valuegtsrT5_10block_sizeLi0EEmE4typeELm256EEEvT1_T0_T2_T3_.has_recursion, 0
	.set _ZN4RAJA6policy3hip4impl18forallp_hip_kernelINS1_8hip_execINS_17iteration_mapping11StridedLoopILm0EEENS_3hip11IndexGlobalILNS_9named_dimE0ELi256ELi0EEENS8_40AvoidDeviceMaxThreadOccupancyConcretizerINS8_34FractionOffsetOccupancyConcretizerINS_8FractionImLm1ELm1EEELln1EEEEELb1EEENS_9Iterators16numeric_iteratorIllPlEEZN8rajaperf5basic13REDUCE_STRUCT17runHipVariantRAJAILm256ENSN_13gpu_algorithm19block_device_helperENSN_11gpu_mapping40global_loop_occupancy_grid_stride_helperEEEvNSN_9VariantIDEEUllE_lNS_4expt15ForallParamPackIJEEES7_SB_TnNSt9enable_ifIXaaaasr3std10is_base_ofINS5_15StridedLoopBaseET4_EE5valuesr3std10is_base_ofINS5_15UnsizedLoopBaseES12_EE5valuegtsrT5_10block_sizeLi0EEmE4typeELm256EEEvT1_T0_T2_T3_.has_indirect_call, 0
	.section	.AMDGPU.csdata,"",@progbits
; Kernel info:
; codeLenInByte = 18312
; TotalNumSgprs: 88
; NumVgprs: 33
; ScratchSize: 0
; MemoryBound: 0
; FloatMode: 240
; IeeeMode: 1
; LDSByteSize: 387 bytes/workgroup (compile time only)
; SGPRBlocks: 10
; VGPRBlocks: 8
; NumSGPRsForWavesPerEU: 88
; NumVGPRsForWavesPerEU: 33
; Occupancy: 7
; WaveLimiterHint : 1
; COMPUTE_PGM_RSRC2:SCRATCH_EN: 0
; COMPUTE_PGM_RSRC2:USER_SGPR: 6
; COMPUTE_PGM_RSRC2:TRAP_HANDLER: 0
; COMPUTE_PGM_RSRC2:TGID_X_EN: 1
; COMPUTE_PGM_RSRC2:TGID_Y_EN: 1
; COMPUTE_PGM_RSRC2:TGID_Z_EN: 1
; COMPUTE_PGM_RSRC2:TIDIG_COMP_CNT: 2
	.section	.text._ZN4RAJA6policy3hip4impl18forallp_hip_kernelINS1_8hip_execINS_17iteration_mapping11StridedLoopILm0EEENS_3hip11IndexGlobalILNS_9named_dimE0ELi256ELi0EEENS8_40AvoidDeviceMaxThreadOccupancyConcretizerINS8_34FractionOffsetOccupancyConcretizerINS_8FractionImLm1ELm1EEELln1EEEEELb1EEENS_9Iterators16numeric_iteratorIllPlEEZN8rajaperf5basic13REDUCE_STRUCT26runHipVariantRAJANewReduceILm256ENSN_11gpu_mapping40global_loop_occupancy_grid_stride_helperEEEvNSN_9VariantIDEEUllRNS_4expt5ValOpIdNS_9operators4plusEEESZ_RNSV_IdNSW_7minimumEEES12_RNSV_IdNSW_7maximumEEES15_E_lNSU_15ForallParamPackIJNSU_6detail7ReducerINSX_IdddEEdSY_EES1B_NS19_INS10_IdddEEdS11_EES1D_NS19_INS13_IdddEEdS14_EES1F_EEES7_SB_TnNSt9enable_ifIXaaaasr3std10is_base_ofINS5_15StridedLoopBaseET4_EE5valuesr3std10is_base_ofINS5_15UnsizedLoopBaseES1J_EE5valuegtsrT5_10block_sizeLi0EEmE4typeELm256EEEvT1_T0_T2_T3_,"axG",@progbits,_ZN4RAJA6policy3hip4impl18forallp_hip_kernelINS1_8hip_execINS_17iteration_mapping11StridedLoopILm0EEENS_3hip11IndexGlobalILNS_9named_dimE0ELi256ELi0EEENS8_40AvoidDeviceMaxThreadOccupancyConcretizerINS8_34FractionOffsetOccupancyConcretizerINS_8FractionImLm1ELm1EEELln1EEEEELb1EEENS_9Iterators16numeric_iteratorIllPlEEZN8rajaperf5basic13REDUCE_STRUCT26runHipVariantRAJANewReduceILm256ENSN_11gpu_mapping40global_loop_occupancy_grid_stride_helperEEEvNSN_9VariantIDEEUllRNS_4expt5ValOpIdNS_9operators4plusEEESZ_RNSV_IdNSW_7minimumEEES12_RNSV_IdNSW_7maximumEEES15_E_lNSU_15ForallParamPackIJNSU_6detail7ReducerINSX_IdddEEdSY_EES1B_NS19_INS10_IdddEEdS11_EES1D_NS19_INS13_IdddEEdS14_EES1F_EEES7_SB_TnNSt9enable_ifIXaaaasr3std10is_base_ofINS5_15StridedLoopBaseET4_EE5valuesr3std10is_base_ofINS5_15UnsizedLoopBaseES1J_EE5valuegtsrT5_10block_sizeLi0EEmE4typeELm256EEEvT1_T0_T2_T3_,comdat
	.protected	_ZN4RAJA6policy3hip4impl18forallp_hip_kernelINS1_8hip_execINS_17iteration_mapping11StridedLoopILm0EEENS_3hip11IndexGlobalILNS_9named_dimE0ELi256ELi0EEENS8_40AvoidDeviceMaxThreadOccupancyConcretizerINS8_34FractionOffsetOccupancyConcretizerINS_8FractionImLm1ELm1EEELln1EEEEELb1EEENS_9Iterators16numeric_iteratorIllPlEEZN8rajaperf5basic13REDUCE_STRUCT26runHipVariantRAJANewReduceILm256ENSN_11gpu_mapping40global_loop_occupancy_grid_stride_helperEEEvNSN_9VariantIDEEUllRNS_4expt5ValOpIdNS_9operators4plusEEESZ_RNSV_IdNSW_7minimumEEES12_RNSV_IdNSW_7maximumEEES15_E_lNSU_15ForallParamPackIJNSU_6detail7ReducerINSX_IdddEEdSY_EES1B_NS19_INS10_IdddEEdS11_EES1D_NS19_INS13_IdddEEdS14_EES1F_EEES7_SB_TnNSt9enable_ifIXaaaasr3std10is_base_ofINS5_15StridedLoopBaseET4_EE5valuesr3std10is_base_ofINS5_15UnsizedLoopBaseES1J_EE5valuegtsrT5_10block_sizeLi0EEmE4typeELm256EEEvT1_T0_T2_T3_ ; -- Begin function _ZN4RAJA6policy3hip4impl18forallp_hip_kernelINS1_8hip_execINS_17iteration_mapping11StridedLoopILm0EEENS_3hip11IndexGlobalILNS_9named_dimE0ELi256ELi0EEENS8_40AvoidDeviceMaxThreadOccupancyConcretizerINS8_34FractionOffsetOccupancyConcretizerINS_8FractionImLm1ELm1EEELln1EEEEELb1EEENS_9Iterators16numeric_iteratorIllPlEEZN8rajaperf5basic13REDUCE_STRUCT26runHipVariantRAJANewReduceILm256ENSN_11gpu_mapping40global_loop_occupancy_grid_stride_helperEEEvNSN_9VariantIDEEUllRNS_4expt5ValOpIdNS_9operators4plusEEESZ_RNSV_IdNSW_7minimumEEES12_RNSV_IdNSW_7maximumEEES15_E_lNSU_15ForallParamPackIJNSU_6detail7ReducerINSX_IdddEEdSY_EES1B_NS19_INS10_IdddEEdS11_EES1D_NS19_INS13_IdddEEdS14_EES1F_EEES7_SB_TnNSt9enable_ifIXaaaasr3std10is_base_ofINS5_15StridedLoopBaseET4_EE5valuesr3std10is_base_ofINS5_15UnsizedLoopBaseES1J_EE5valuegtsrT5_10block_sizeLi0EEmE4typeELm256EEEvT1_T0_T2_T3_
	.globl	_ZN4RAJA6policy3hip4impl18forallp_hip_kernelINS1_8hip_execINS_17iteration_mapping11StridedLoopILm0EEENS_3hip11IndexGlobalILNS_9named_dimE0ELi256ELi0EEENS8_40AvoidDeviceMaxThreadOccupancyConcretizerINS8_34FractionOffsetOccupancyConcretizerINS_8FractionImLm1ELm1EEELln1EEEEELb1EEENS_9Iterators16numeric_iteratorIllPlEEZN8rajaperf5basic13REDUCE_STRUCT26runHipVariantRAJANewReduceILm256ENSN_11gpu_mapping40global_loop_occupancy_grid_stride_helperEEEvNSN_9VariantIDEEUllRNS_4expt5ValOpIdNS_9operators4plusEEESZ_RNSV_IdNSW_7minimumEEES12_RNSV_IdNSW_7maximumEEES15_E_lNSU_15ForallParamPackIJNSU_6detail7ReducerINSX_IdddEEdSY_EES1B_NS19_INS10_IdddEEdS11_EES1D_NS19_INS13_IdddEEdS14_EES1F_EEES7_SB_TnNSt9enable_ifIXaaaasr3std10is_base_ofINS5_15StridedLoopBaseET4_EE5valuesr3std10is_base_ofINS5_15UnsizedLoopBaseES1J_EE5valuegtsrT5_10block_sizeLi0EEmE4typeELm256EEEvT1_T0_T2_T3_
	.p2align	8
	.type	_ZN4RAJA6policy3hip4impl18forallp_hip_kernelINS1_8hip_execINS_17iteration_mapping11StridedLoopILm0EEENS_3hip11IndexGlobalILNS_9named_dimE0ELi256ELi0EEENS8_40AvoidDeviceMaxThreadOccupancyConcretizerINS8_34FractionOffsetOccupancyConcretizerINS_8FractionImLm1ELm1EEELln1EEEEELb1EEENS_9Iterators16numeric_iteratorIllPlEEZN8rajaperf5basic13REDUCE_STRUCT26runHipVariantRAJANewReduceILm256ENSN_11gpu_mapping40global_loop_occupancy_grid_stride_helperEEEvNSN_9VariantIDEEUllRNS_4expt5ValOpIdNS_9operators4plusEEESZ_RNSV_IdNSW_7minimumEEES12_RNSV_IdNSW_7maximumEEES15_E_lNSU_15ForallParamPackIJNSU_6detail7ReducerINSX_IdddEEdSY_EES1B_NS19_INS10_IdddEEdS11_EES1D_NS19_INS13_IdddEEdS14_EES1F_EEES7_SB_TnNSt9enable_ifIXaaaasr3std10is_base_ofINS5_15StridedLoopBaseET4_EE5valuesr3std10is_base_ofINS5_15UnsizedLoopBaseES1J_EE5valuegtsrT5_10block_sizeLi0EEmE4typeELm256EEEvT1_T0_T2_T3_,@function
_ZN4RAJA6policy3hip4impl18forallp_hip_kernelINS1_8hip_execINS_17iteration_mapping11StridedLoopILm0EEENS_3hip11IndexGlobalILNS_9named_dimE0ELi256ELi0EEENS8_40AvoidDeviceMaxThreadOccupancyConcretizerINS8_34FractionOffsetOccupancyConcretizerINS_8FractionImLm1ELm1EEELln1EEEEELb1EEENS_9Iterators16numeric_iteratorIllPlEEZN8rajaperf5basic13REDUCE_STRUCT26runHipVariantRAJANewReduceILm256ENSN_11gpu_mapping40global_loop_occupancy_grid_stride_helperEEEvNSN_9VariantIDEEUllRNS_4expt5ValOpIdNS_9operators4plusEEESZ_RNSV_IdNSW_7minimumEEES12_RNSV_IdNSW_7maximumEEES15_E_lNSU_15ForallParamPackIJNSU_6detail7ReducerINSX_IdddEEdSY_EES1B_NS19_INS10_IdddEEdS11_EES1D_NS19_INS13_IdddEEdS14_EES1F_EEES7_SB_TnNSt9enable_ifIXaaaasr3std10is_base_ofINS5_15StridedLoopBaseET4_EE5valuesr3std10is_base_ofINS5_15UnsizedLoopBaseES1J_EE5valuegtsrT5_10block_sizeLi0EEmE4typeELm256EEEvT1_T0_T2_T3_: ; @_ZN4RAJA6policy3hip4impl18forallp_hip_kernelINS1_8hip_execINS_17iteration_mapping11StridedLoopILm0EEENS_3hip11IndexGlobalILNS_9named_dimE0ELi256ELi0EEENS8_40AvoidDeviceMaxThreadOccupancyConcretizerINS8_34FractionOffsetOccupancyConcretizerINS_8FractionImLm1ELm1EEELln1EEEEELb1EEENS_9Iterators16numeric_iteratorIllPlEEZN8rajaperf5basic13REDUCE_STRUCT26runHipVariantRAJANewReduceILm256ENSN_11gpu_mapping40global_loop_occupancy_grid_stride_helperEEEvNSN_9VariantIDEEUllRNS_4expt5ValOpIdNS_9operators4plusEEESZ_RNSV_IdNSW_7minimumEEES12_RNSV_IdNSW_7maximumEEES15_E_lNSU_15ForallParamPackIJNSU_6detail7ReducerINSX_IdddEEdSY_EES1B_NS19_INS10_IdddEEdS11_EES1D_NS19_INS13_IdddEEdS14_EES1F_EEES7_SB_TnNSt9enable_ifIXaaaasr3std10is_base_ofINS5_15StridedLoopBaseET4_EE5valuesr3std10is_base_ofINS5_15UnsizedLoopBaseES1J_EE5valuegtsrT5_10block_sizeLi0EEmE4typeELm256EEEvT1_T0_T2_T3_
; %bb.0:
	s_load_dwordx8 s[60:67], s[4:5], 0x0
	s_load_dwordx2 s[0:1], s[4:5], 0x20
	s_load_dwordx8 s[52:59], s[4:5], 0x30
	s_load_dwordx8 s[44:51], s[4:5], 0x58
	;; [unrolled: 1-line block ×5, first 2 shown]
	s_load_dwordx2 s[68:69], s[4:5], 0x108
	s_load_dwordx4 s[28:31], s[4:5], 0xf8
	s_mov_b32 s7, 0
	s_load_dword s34, s[4:5], 0x110
	s_lshl_b64 s[2:3], s[6:7], 8
	v_or_b32_e32 v13, s2, v0
	v_mov_b32_e32 v14, s3
	s_add_u32 s8, s4, 0x110
	s_waitcnt lgkmcnt(0)
	v_mov_b32_e32 v3, s18
	v_mov_b32_e32 v5, s26
	;; [unrolled: 1-line block ×6, first 2 shown]
	v_cmp_gt_i64_e32 vcc, s[66:67], v[13:14]
	s_addc_u32 s9, s5, 0
	v_mov_b32_e32 v4, s19
	v_mov_b32_e32 v6, s27
	;; [unrolled: 1-line block ×6, first 2 shown]
	s_and_saveexec_b64 s[10:11], vcc
	s_cbranch_execz .LBB6_4
; %bb.1:
	s_mov_b32 s35, s7
	s_lshl_b64 s[70:71], s[34:35], 8
	s_add_u32 s2, s64, s2
	s_addc_u32 s3, s65, s3
	v_mov_b32_e32 v4, s3
	v_add_co_u32_e32 v3, vcc, s2, v0
	v_addc_co_u32_e32 v4, vcc, 0, v4, vcc
	v_lshlrev_b64 v[17:18], 3, v[3:4]
	v_mov_b32_e32 v3, s18
	v_mov_b32_e32 v5, s26
	;; [unrolled: 1-line block ×6, first 2 shown]
	s_lshl_b64 s[72:73], s[34:35], 11
	s_mov_b64 s[64:65], 0
	v_mov_b32_e32 v4, s19
	v_mov_b32_e32 v6, s27
	;; [unrolled: 1-line block ×6, first 2 shown]
.LBB6_2:                                ; =>This Inner Loop Header: Depth=1
	v_mov_b32_e32 v20, s61
	v_mov_b32_e32 v23, s63
	v_add_co_u32_e32 v19, vcc, s62, v17
	v_add_co_u32_e64 v21, s[0:1], s60, v17
	v_addc_co_u32_e64 v22, s[0:1], v20, v18, s[0:1]
	v_addc_co_u32_e32 v20, vcc, v23, v18, vcc
	global_load_dwordx2 v[21:22], v[21:22], off
	s_nop 0
	global_load_dwordx2 v[19:20], v[19:20], off
	v_mov_b32_e32 v23, s71
	v_mov_b32_e32 v24, s73
	v_add_co_u32_e32 v17, vcc, s72, v17
	v_add_co_u32_e64 v13, s[0:1], s70, v13
	v_addc_co_u32_e64 v14, s[0:1], v14, v23, s[0:1]
	v_addc_co_u32_e32 v18, vcc, v18, v24, vcc
	v_cmp_le_i64_e32 vcc, s[66:67], v[13:14]
	s_or_b64 s[64:65], vcc, s[64:65]
	s_waitcnt vmcnt(1)
	v_cmp_lt_f64_e32 vcc, v[21:22], v[9:10]
	v_cmp_gt_f64_e64 s[0:1], v[21:22], v[5:6]
	s_waitcnt vmcnt(0)
	v_cmp_lt_f64_e64 s[2:3], v[19:20], v[7:8]
	v_cmp_gt_f64_e64 s[4:5], v[19:20], v[3:4]
	v_add_f64 v[15:16], v[15:16], v[21:22]
	v_add_f64 v[11:12], v[11:12], v[19:20]
	v_cndmask_b32_e32 v10, v10, v22, vcc
	v_cndmask_b32_e64 v6, v6, v22, s[0:1]
	v_cndmask_b32_e64 v8, v8, v20, s[2:3]
	;; [unrolled: 1-line block ×3, first 2 shown]
	v_cndmask_b32_e32 v9, v9, v21, vcc
	v_cndmask_b32_e64 v5, v5, v21, s[0:1]
	v_cndmask_b32_e64 v7, v7, v19, s[2:3]
	;; [unrolled: 1-line block ×3, first 2 shown]
	s_andn2_b64 exec, exec, s[64:65]
	s_cbranch_execnz .LBB6_2
; %bb.3:
	s_or_b64 exec, exec, s[64:65]
.LBB6_4:
	s_or_b64 exec, exec, s[10:11]
	v_mbcnt_lo_u32_b32 v13, -1, 0
	v_mbcnt_hi_u32_b32 v22, -1, v13
	v_and_b32_e32 v13, 64, v22
	v_add_u32_e32 v21, 64, v13
	v_xor_b32_e32 v13, 1, v22
	v_cmp_lt_i32_e32 vcc, v13, v21
	v_cndmask_b32_e32 v13, v22, v13, vcc
	v_lshlrev_b32_e32 v18, 2, v13
	ds_bpermute_b32 v13, v18, v15
	ds_bpermute_b32 v14, v18, v16
	s_waitcnt lgkmcnt(0)
	v_add_f64 v[13:14], v[15:16], v[13:14]
	v_xor_b32_e32 v15, 2, v22
	v_cmp_lt_i32_e32 vcc, v15, v21
	v_cndmask_b32_e32 v15, v22, v15, vcc
	v_lshlrev_b32_e32 v17, 2, v15
	ds_bpermute_b32 v15, v17, v13
	ds_bpermute_b32 v16, v17, v14
	s_waitcnt lgkmcnt(0)
	v_add_f64 v[13:14], v[13:14], v[15:16]
	v_xor_b32_e32 v15, 4, v22
	v_cmp_lt_i32_e32 vcc, v15, v21
	v_cndmask_b32_e32 v15, v22, v15, vcc
	v_lshlrev_b32_e32 v16, 2, v15
	v_xor_b32_e32 v15, 8, v22
	v_cmp_lt_i32_e32 vcc, v15, v21
	v_cndmask_b32_e32 v15, v22, v15, vcc
	ds_bpermute_b32 v19, v16, v13
	ds_bpermute_b32 v20, v16, v14
	v_lshlrev_b32_e32 v15, 2, v15
	s_waitcnt lgkmcnt(0)
	v_add_f64 v[13:14], v[13:14], v[19:20]
	ds_bpermute_b32 v19, v15, v13
	ds_bpermute_b32 v20, v15, v14
	s_waitcnt lgkmcnt(0)
	v_add_f64 v[13:14], v[13:14], v[19:20]
	v_xor_b32_e32 v19, 16, v22
	v_cmp_lt_i32_e32 vcc, v19, v21
	v_cndmask_b32_e32 v19, v22, v19, vcc
	v_lshlrev_b32_e32 v20, 2, v19
	v_xor_b32_e32 v19, 32, v22
	v_cmp_lt_i32_e32 vcc, v19, v21
	v_cndmask_b32_e32 v19, v22, v19, vcc
	ds_bpermute_b32 v23, v20, v13
	ds_bpermute_b32 v24, v20, v14
	v_lshlrev_b32_e32 v21, 2, v19
	v_and_b32_e32 v19, 63, v0
	v_cmp_eq_u32_e64 s[2:3], 0, v19
	s_waitcnt lgkmcnt(0)
	v_add_f64 v[13:14], v[13:14], v[23:24]
	ds_bpermute_b32 v23, v21, v13
	ds_bpermute_b32 v24, v21, v14
	s_waitcnt lgkmcnt(0)
	v_add_f64 v[13:14], v[13:14], v[23:24]
	s_and_saveexec_b64 s[0:1], s[2:3]
; %bb.5:
	v_lshrrev_b32_e32 v23, 3, v0
	ds_write_b64 v23, v[13:14] offset:256
; %bb.6:
	s_or_b64 exec, exec, s[0:1]
	v_cmp_gt_u32_e64 s[4:5], 64, v0
	s_waitcnt lgkmcnt(0)
	s_barrier
	s_and_saveexec_b64 s[0:1], s[4:5]
	s_cbranch_execz .LBB6_10
; %bb.7:
	v_mov_b32_e32 v13, 0
	v_mov_b32_e32 v14, 0
	v_cmp_gt_u32_e32 vcc, 4, v19
	s_and_saveexec_b64 s[10:11], vcc
; %bb.8:
	v_lshlrev_b32_e32 v13, 3, v19
	ds_read_b64 v[13:14], v13 offset:256
; %bb.9:
	s_or_b64 exec, exec, s[10:11]
	s_waitcnt lgkmcnt(0)
	ds_bpermute_b32 v23, v18, v13
	ds_bpermute_b32 v24, v18, v14
	s_waitcnt lgkmcnt(0)
	v_add_f64 v[13:14], v[13:14], v[23:24]
	ds_bpermute_b32 v23, v17, v13
	ds_bpermute_b32 v24, v17, v14
	s_waitcnt lgkmcnt(0)
	v_add_f64 v[13:14], v[13:14], v[23:24]
	;; [unrolled: 4-line block ×4, first 2 shown]
.LBB6_10:
	s_or_b64 exec, exec, s[0:1]
	v_mov_b32_e32 v23, 0
	v_cmp_eq_u32_e64 s[0:1], 0, v0
	v_mov_b32_e32 v24, 0
	s_barrier
	s_and_saveexec_b64 s[10:11], s[0:1]
	s_cbranch_execz .LBB6_12
; %bb.11:
	s_ashr_i32 s7, s6, 31
	s_add_i32 s26, s34, -1
	s_lshl_b64 s[18:19], s[6:7], 3
	s_add_u32 s18, s54, s18
	v_mov_b32_e32 v24, 0
	s_addc_u32 s19, s55, s19
	global_store_dwordx2 v24, v[13:14], s[18:19]
	v_mov_b32_e32 v13, s26
	s_waitcnt vmcnt(0)
	buffer_wbinvl1_vol
	global_atomic_inc v13, v24, v13, s[56:57] glc
	s_waitcnt vmcnt(0)
	v_cmp_eq_u32_e32 vcc, s26, v13
	v_cndmask_b32_e64 v24, 0, 1, vcc
.LBB6_12:
	s_or_b64 exec, exec, s[10:11]
	global_load_dword v13, v23, s[8:9] offset:14
	s_waitcnt vmcnt(0)
	v_readfirstlane_b32 s7, v13
	s_lshr_b32 s10, s7, 16
	s_and_b32 s18, s7, 0xffff
	s_cmp_lt_u32 s6, s34
	s_cselect_b32 s7, 12, 18
	s_add_u32 s8, s8, s7
	s_addc_u32 s9, s9, 0
	global_load_ushort v23, v23, s[8:9]
	v_or_b32_dpp v13, v24, v24 row_shl:1 row_mask:0xf bank_mask:0xf bound_ctrl:1
	v_mad_u32_u24 v24, v2, s18, v1
	s_waitcnt vmcnt(0)
	v_readfirstlane_b32 s9, v23
	v_or_b32_dpp v13, v13, v13 row_shl:2 row_mask:0xf bank_mask:0xf bound_ctrl:1
	s_mul_i32 s9, s18, s9
	s_bfe_i32 s9, s9, 0x180000
	v_or_b32_dpp v13, v13, v13 row_shl:4 row_mask:0xf bank_mask:0xf bound_ctrl:1
	s_mul_i32 s9, s9, s10
	s_add_i32 s9, s9, 63
	v_or_b32_dpp v13, v13, v13 row_shl:8 row_mask:0xf bank_mask:0xf bound_ctrl:1
	s_bitcmp1_b32 exec_hi, 0
	s_nop 0
	v_mov_b32_dpp v14, v13 wave_shl:1 row_mask:0xf bank_mask:0xf bound_ctrl:1
	s_nop 1
	v_or_b32_dpp v13, v14, v13 row_mirror row_mask:0xf bank_mask:0xf bound_ctrl:1
	v_readlane_b32 s7, v13, 32
	v_readlane_b32 s8, v13, 0
	s_cselect_b32 s7, s7, 0
	s_andn2_b32 s9, s9, 63
	s_or_b32 s7, s7, s8
	s_cmp_lg_u32 s9, 64
	s_cselect_b64 s[10:11], -1, 0
	s_cmp_eq_u32 s9, 64
	v_mov_b32_e32 v13, s7
	s_cbranch_scc1 .LBB6_19
; %bb.13:
	v_mad_u64_u32 v[1:2], s[8:9], v24, v23, v[0:1]
	v_lshrrev_b32_e32 v2, 6, v1
	v_or_b32_e32 v2, v2, v22
	v_cmp_eq_u32_e32 vcc, 0, v2
	s_and_saveexec_b64 s[8:9], vcc
; %bb.14:
	v_mov_b32_e32 v2, 0
	v_mov_b32_e32 v13, s7
	ds_write_b32 v2, v13
; %bb.15:
	s_or_b64 exec, exec, s[8:9]
	v_cmp_eq_u32_e32 vcc, 0, v22
	v_cmp_lt_u32_e64 s[8:9], 63, v1
	s_and_b64 s[18:19], vcc, s[8:9]
	s_waitcnt lgkmcnt(0)
	s_barrier
	s_and_saveexec_b64 s[8:9], s[18:19]
	s_cbranch_execz .LBB6_18
; %bb.16:
	v_mbcnt_lo_u32_b32 v1, exec_lo, 0
	v_mbcnt_hi_u32_b32 v1, exec_hi, v1
	v_cmp_eq_u32_e32 vcc, 0, v1
	s_and_b64 exec, exec, vcc
; %bb.17:
	v_mov_b32_e32 v1, 0
	v_mov_b32_e32 v2, s7
	ds_or_b32 v1, v2
.LBB6_18:
	s_or_b64 exec, exec, s[8:9]
	v_mov_b32_e32 v1, 0
	s_waitcnt lgkmcnt(0)
	s_barrier
	ds_read_b32 v13, v1
	s_waitcnt lgkmcnt(0)
	s_barrier
.LBB6_19:
	v_cmp_eq_u32_e32 vcc, 0, v13
	v_cmp_gt_i32_e64 s[8:9], s34, v0
	s_cbranch_vccnz .LBB6_33
; %bb.20:
	v_mov_b32_e32 v1, 0
	v_mov_b32_e32 v2, 0
	buffer_wbinvl1_vol
	s_and_saveexec_b64 s[18:19], s[8:9]
	s_cbranch_execz .LBB6_24
; %bb.21:
	v_lshlrev_b32_e32 v1, 3, v0
	v_mov_b32_e32 v2, s55
	v_add_co_u32_e32 v13, vcc, s54, v1
	v_addc_co_u32_e32 v14, vcc, 0, v2, vcc
	v_mov_b32_e32 v1, 0
	v_mov_b32_e32 v2, 0
	s_mov_b64 s[26:27], 0
	v_mov_b32_e32 v25, v0
.LBB6_22:                               ; =>This Inner Loop Header: Depth=1
	global_load_dwordx2 v[26:27], v[13:14], off
	v_add_u32_e32 v25, 0x100, v25
	v_add_co_u32_e32 v13, vcc, 0x800, v13
	v_cmp_le_i32_e64 s[8:9], s34, v25
	s_or_b64 s[26:27], s[8:9], s[26:27]
	v_addc_co_u32_e32 v14, vcc, 0, v14, vcc
	s_waitcnt vmcnt(0)
	v_add_f64 v[1:2], v[1:2], v[26:27]
	s_andn2_b64 exec, exec, s[26:27]
	s_cbranch_execnz .LBB6_22
; %bb.23:
	s_or_b64 exec, exec, s[26:27]
.LBB6_24:
	s_or_b64 exec, exec, s[18:19]
	ds_bpermute_b32 v13, v18, v1
	ds_bpermute_b32 v14, v18, v2
	s_waitcnt lgkmcnt(0)
	v_add_f64 v[1:2], v[1:2], v[13:14]
	ds_bpermute_b32 v13, v17, v1
	ds_bpermute_b32 v14, v17, v2
	s_waitcnt lgkmcnt(0)
	v_add_f64 v[1:2], v[1:2], v[13:14]
	;; [unrolled: 4-line block ×6, first 2 shown]
	s_and_saveexec_b64 s[8:9], s[2:3]
; %bb.25:
	v_lshrrev_b32_e32 v13, 3, v0
	ds_write_b64 v13, v[1:2] offset:256
; %bb.26:
	s_or_b64 exec, exec, s[8:9]
	s_waitcnt lgkmcnt(0)
	s_barrier
	s_and_saveexec_b64 s[8:9], s[4:5]
	s_cbranch_execz .LBB6_30
; %bb.27:
	v_mov_b32_e32 v1, 0
	v_mov_b32_e32 v2, 0
	v_cmp_gt_u32_e32 vcc, 4, v19
	s_and_saveexec_b64 s[18:19], vcc
; %bb.28:
	v_lshlrev_b32_e32 v1, 3, v19
	ds_read_b64 v[1:2], v1 offset:256
; %bb.29:
	s_or_b64 exec, exec, s[18:19]
	s_waitcnt lgkmcnt(0)
	ds_bpermute_b32 v13, v18, v1
	ds_bpermute_b32 v14, v18, v2
	s_waitcnt lgkmcnt(0)
	v_add_f64 v[1:2], v[1:2], v[13:14]
	ds_bpermute_b32 v13, v17, v1
	ds_bpermute_b32 v14, v17, v2
	s_waitcnt lgkmcnt(0)
	v_add_f64 v[1:2], v[1:2], v[13:14]
	;; [unrolled: 4-line block ×4, first 2 shown]
.LBB6_30:
	s_or_b64 exec, exec, s[8:9]
	s_barrier
	s_and_saveexec_b64 s[8:9], s[0:1]
	s_cbranch_execz .LBB6_32
; %bb.31:
	v_mov_b32_e32 v13, 0
	global_store_dwordx2 v13, v[1:2], s[52:53]
.LBB6_32:
	s_or_b64 exec, exec, s[8:9]
.LBB6_33:
	ds_bpermute_b32 v1, v18, v11
	ds_bpermute_b32 v2, v18, v12
	s_waitcnt lgkmcnt(0)
	v_add_f64 v[1:2], v[11:12], v[1:2]
	ds_bpermute_b32 v11, v17, v1
	ds_bpermute_b32 v12, v17, v2
	s_waitcnt lgkmcnt(0)
	v_add_f64 v[1:2], v[1:2], v[11:12]
	;; [unrolled: 4-line block ×6, first 2 shown]
	s_and_saveexec_b64 s[8:9], s[2:3]
; %bb.34:
	v_lshrrev_b32_e32 v11, 3, v0
	ds_write_b64 v11, v[1:2] offset:256
; %bb.35:
	s_or_b64 exec, exec, s[8:9]
	s_waitcnt vmcnt(0) lgkmcnt(0)
	s_barrier
	s_and_saveexec_b64 s[8:9], s[4:5]
	s_cbranch_execz .LBB6_39
; %bb.36:
	v_mov_b32_e32 v1, 0
	v_mov_b32_e32 v2, 0
	v_cmp_gt_u32_e32 vcc, 4, v19
	s_and_saveexec_b64 s[18:19], vcc
; %bb.37:
	v_lshlrev_b32_e32 v1, 3, v19
	ds_read_b64 v[1:2], v1 offset:256
; %bb.38:
	s_or_b64 exec, exec, s[18:19]
	s_waitcnt lgkmcnt(0)
	ds_bpermute_b32 v11, v18, v1
	ds_bpermute_b32 v12, v18, v2
	s_waitcnt lgkmcnt(0)
	v_add_f64 v[1:2], v[1:2], v[11:12]
	ds_bpermute_b32 v11, v17, v1
	ds_bpermute_b32 v12, v17, v2
	s_waitcnt lgkmcnt(0)
	v_add_f64 v[1:2], v[1:2], v[11:12]
	;; [unrolled: 4-line block ×4, first 2 shown]
.LBB6_39:
	s_or_b64 exec, exec, s[8:9]
	v_mov_b32_e32 v11, 0
	s_barrier
	s_and_saveexec_b64 s[8:9], s[0:1]
	s_cbranch_execz .LBB6_41
; %bb.40:
	s_ashr_i32 s7, s6, 31
	s_add_i32 s26, s34, -1
	s_lshl_b64 s[18:19], s[6:7], 3
	s_add_u32 s18, s46, s18
	v_mov_b32_e32 v11, 0
	s_addc_u32 s19, s47, s19
	global_store_dwordx2 v11, v[1:2], s[18:19]
	v_mov_b32_e32 v1, s26
	s_waitcnt vmcnt(0)
	buffer_wbinvl1_vol
	global_atomic_inc v1, v11, v1, s[48:49] glc
	s_waitcnt vmcnt(0)
	v_cmp_eq_u32_e32 vcc, s26, v1
	v_cndmask_b32_e64 v11, 0, 1, vcc
.LBB6_41:
	s_or_b64 exec, exec, s[8:9]
	s_nop 0
	v_or_b32_dpp v1, v11, v11 row_shl:1 row_mask:0xf bank_mask:0xf bound_ctrl:1
	s_bitcmp1_b32 exec_hi, 0
	s_nop 0
	v_or_b32_dpp v1, v1, v1 row_shl:2 row_mask:0xf bank_mask:0xf bound_ctrl:1
	s_nop 1
	v_or_b32_dpp v1, v1, v1 row_shl:4 row_mask:0xf bank_mask:0xf bound_ctrl:1
	;; [unrolled: 2-line block ×3, first 2 shown]
	s_nop 1
	v_mov_b32_dpp v2, v1 wave_shl:1 row_mask:0xf bank_mask:0xf bound_ctrl:1
	s_nop 1
	v_or_b32_dpp v1, v2, v1 row_mirror row_mask:0xf bank_mask:0xf bound_ctrl:1
	v_readlane_b32 s7, v1, 32
	s_cselect_b32 s7, s7, 0
	v_readlane_b32 s8, v1, 0
	s_or_b32 s7, s7, s8
	v_cndmask_b32_e64 v1, 0, 1, s[10:11]
	v_cmp_ne_u32_e64 s[8:9], 1, v1
	s_andn2_b64 vcc, exec, s[10:11]
	v_mov_b32_e32 v1, s7
	s_cbranch_vccnz .LBB6_48
; %bb.42:
	v_mad_u64_u32 v[1:2], s[10:11], v24, v23, v[0:1]
	v_lshrrev_b32_e32 v2, 6, v1
	v_or_b32_e32 v2, v2, v22
	v_cmp_eq_u32_e32 vcc, 0, v2
	s_and_saveexec_b64 s[10:11], vcc
; %bb.43:
	v_mov_b32_e32 v2, 0
	v_mov_b32_e32 v11, s7
	ds_write_b32 v2, v11
; %bb.44:
	s_or_b64 exec, exec, s[10:11]
	v_cmp_eq_u32_e32 vcc, 0, v22
	v_cmp_lt_u32_e64 s[10:11], 63, v1
	s_and_b64 s[18:19], vcc, s[10:11]
	s_waitcnt lgkmcnt(0)
	s_barrier
	s_and_saveexec_b64 s[10:11], s[18:19]
	s_cbranch_execz .LBB6_47
; %bb.45:
	v_mbcnt_lo_u32_b32 v1, exec_lo, 0
	v_mbcnt_hi_u32_b32 v1, exec_hi, v1
	v_cmp_eq_u32_e32 vcc, 0, v1
	s_and_b64 exec, exec, vcc
; %bb.46:
	v_mov_b32_e32 v1, 0
	v_mov_b32_e32 v2, s7
	ds_or_b32 v1, v2
.LBB6_47:
	s_or_b64 exec, exec, s[10:11]
	v_mov_b32_e32 v1, 0
	s_waitcnt lgkmcnt(0)
	s_barrier
	ds_read_b32 v1, v1
	s_waitcnt lgkmcnt(0)
	s_barrier
.LBB6_48:
	v_cmp_eq_u32_e32 vcc, 0, v1
	s_cbranch_vccnz .LBB6_62
; %bb.49:
	v_mov_b32_e32 v1, 0
	v_mov_b32_e32 v2, 0
	v_cmp_gt_i32_e32 vcc, s34, v0
	buffer_wbinvl1_vol
	s_and_saveexec_b64 s[18:19], vcc
	s_cbranch_execz .LBB6_53
; %bb.50:
	v_lshlrev_b32_e32 v1, 3, v0
	v_mov_b32_e32 v2, s47
	v_add_co_u32_e32 v11, vcc, s46, v1
	v_addc_co_u32_e32 v12, vcc, 0, v2, vcc
	v_mov_b32_e32 v1, 0
	v_mov_b32_e32 v2, 0
	s_mov_b64 s[26:27], 0
	v_mov_b32_e32 v13, v0
.LBB6_51:                               ; =>This Inner Loop Header: Depth=1
	global_load_dwordx2 v[25:26], v[11:12], off
	v_add_u32_e32 v13, 0x100, v13
	v_add_co_u32_e32 v11, vcc, 0x800, v11
	v_cmp_le_i32_e64 s[10:11], s34, v13
	s_or_b64 s[26:27], s[10:11], s[26:27]
	v_addc_co_u32_e32 v12, vcc, 0, v12, vcc
	s_waitcnt vmcnt(0)
	v_add_f64 v[1:2], v[1:2], v[25:26]
	s_andn2_b64 exec, exec, s[26:27]
	s_cbranch_execnz .LBB6_51
; %bb.52:
	s_or_b64 exec, exec, s[26:27]
.LBB6_53:
	s_or_b64 exec, exec, s[18:19]
	ds_bpermute_b32 v11, v18, v1
	ds_bpermute_b32 v12, v18, v2
	s_waitcnt lgkmcnt(0)
	v_add_f64 v[1:2], v[1:2], v[11:12]
	ds_bpermute_b32 v11, v17, v1
	ds_bpermute_b32 v12, v17, v2
	s_waitcnt lgkmcnt(0)
	v_add_f64 v[1:2], v[1:2], v[11:12]
	;; [unrolled: 4-line block ×6, first 2 shown]
	s_and_saveexec_b64 s[10:11], s[2:3]
; %bb.54:
	v_lshrrev_b32_e32 v11, 3, v0
	ds_write_b64 v11, v[1:2] offset:256
; %bb.55:
	s_or_b64 exec, exec, s[10:11]
	s_waitcnt lgkmcnt(0)
	s_barrier
	s_and_saveexec_b64 s[10:11], s[4:5]
	s_cbranch_execz .LBB6_59
; %bb.56:
	v_mov_b32_e32 v1, 0
	v_mov_b32_e32 v2, 0
	v_cmp_gt_u32_e32 vcc, 4, v19
	s_and_saveexec_b64 s[18:19], vcc
; %bb.57:
	v_lshlrev_b32_e32 v1, 3, v19
	ds_read_b64 v[1:2], v1 offset:256
; %bb.58:
	s_or_b64 exec, exec, s[18:19]
	s_waitcnt lgkmcnt(0)
	ds_bpermute_b32 v11, v18, v1
	ds_bpermute_b32 v12, v18, v2
	s_waitcnt lgkmcnt(0)
	v_add_f64 v[1:2], v[1:2], v[11:12]
	ds_bpermute_b32 v11, v17, v1
	ds_bpermute_b32 v12, v17, v2
	s_waitcnt lgkmcnt(0)
	v_add_f64 v[1:2], v[1:2], v[11:12]
	;; [unrolled: 4-line block ×4, first 2 shown]
.LBB6_59:
	s_or_b64 exec, exec, s[10:11]
	s_barrier
	s_and_saveexec_b64 s[10:11], s[0:1]
	s_cbranch_execz .LBB6_61
; %bb.60:
	v_mov_b32_e32 v11, 0
	global_store_dwordx2 v11, v[1:2], s[44:45]
.LBB6_61:
	s_or_b64 exec, exec, s[10:11]
.LBB6_62:
	ds_bpermute_b32 v1, v18, v9
	ds_bpermute_b32 v2, v18, v10
	s_waitcnt lgkmcnt(0)
	v_cmp_gt_f64_e32 vcc, v[9:10], v[1:2]
	v_cndmask_b32_e32 v2, v10, v2, vcc
	v_cndmask_b32_e32 v1, v9, v1, vcc
	ds_bpermute_b32 v10, v17, v2
	ds_bpermute_b32 v9, v17, v1
	s_waitcnt lgkmcnt(0)
	v_cmp_gt_f64_e32 vcc, v[1:2], v[9:10]
	v_cndmask_b32_e32 v2, v2, v10, vcc
	v_cndmask_b32_e32 v1, v1, v9, vcc
	;; [unrolled: 6-line block ×6, first 2 shown]
	s_and_saveexec_b64 s[10:11], s[2:3]
; %bb.63:
	v_lshrrev_b32_e32 v9, 3, v0
	ds_write_b64 v9, v[1:2] offset:512
; %bb.64:
	s_or_b64 exec, exec, s[10:11]
	s_waitcnt vmcnt(0) lgkmcnt(0)
	s_barrier
	s_and_saveexec_b64 s[10:11], s[4:5]
	s_cbranch_execz .LBB6_68
; %bb.65:
	v_cmp_gt_u32_e32 vcc, 4, v19
	v_mov_b32_e32 v1, -1
	v_mov_b32_e32 v2, 0x7fefffff
	s_and_saveexec_b64 s[18:19], vcc
; %bb.66:
	v_lshlrev_b32_e32 v1, 3, v19
	ds_read_b64 v[1:2], v1 offset:512
; %bb.67:
	s_or_b64 exec, exec, s[18:19]
	s_waitcnt lgkmcnt(0)
	ds_bpermute_b32 v11, v18, v2
	ds_bpermute_b32 v9, v18, v1
	s_waitcnt lgkmcnt(1)
	v_mov_b32_e32 v10, v11
	s_waitcnt lgkmcnt(0)
	v_cmp_gt_f64_e32 vcc, v[1:2], v[9:10]
	v_cndmask_b32_e32 v2, v2, v11, vcc
	ds_bpermute_b32 v11, v17, v2
	v_cndmask_b32_e32 v1, v1, v9, vcc
	ds_bpermute_b32 v9, v17, v1
	s_waitcnt lgkmcnt(1)
	v_mov_b32_e32 v10, v11
	s_waitcnt lgkmcnt(0)
	v_cmp_gt_f64_e32 vcc, v[1:2], v[9:10]
	v_cndmask_b32_e32 v2, v2, v11, vcc
	ds_bpermute_b32 v11, v16, v2
	v_cndmask_b32_e32 v1, v1, v9, vcc
	ds_bpermute_b32 v9, v16, v1
	s_waitcnt lgkmcnt(1)
	v_mov_b32_e32 v10, v11
	s_waitcnt lgkmcnt(0)
	v_cmp_gt_f64_e32 vcc, v[1:2], v[9:10]
	v_cndmask_b32_e32 v2, v2, v11, vcc
	v_cndmask_b32_e32 v1, v1, v9, vcc
	ds_bpermute_b32 v11, v15, v2
	ds_bpermute_b32 v9, v15, v1
	s_waitcnt lgkmcnt(1)
	v_mov_b32_e32 v10, v11
	s_waitcnt lgkmcnt(0)
	v_cmp_gt_f64_e32 vcc, v[1:2], v[9:10]
	v_cndmask_b32_e32 v2, v2, v11, vcc
	v_cndmask_b32_e32 v1, v1, v9, vcc
.LBB6_68:
	s_or_b64 exec, exec, s[10:11]
	v_mov_b32_e32 v9, 0
	s_barrier
	s_and_saveexec_b64 s[10:11], s[0:1]
	s_cbranch_execz .LBB6_70
; %bb.69:
	s_ashr_i32 s7, s6, 31
	s_add_i32 s26, s34, -1
	s_lshl_b64 s[18:19], s[6:7], 3
	s_add_u32 s18, s38, s18
	v_mov_b32_e32 v9, 0
	s_addc_u32 s19, s39, s19
	global_store_dwordx2 v9, v[1:2], s[18:19]
	v_mov_b32_e32 v1, s26
	s_waitcnt vmcnt(0)
	buffer_wbinvl1_vol
	global_atomic_inc v1, v9, v1, s[40:41] glc
	s_waitcnt vmcnt(0)
	v_cmp_eq_u32_e32 vcc, s26, v1
	v_cndmask_b32_e64 v9, 0, 1, vcc
.LBB6_70:
	s_or_b64 exec, exec, s[10:11]
	s_nop 0
	v_or_b32_dpp v1, v9, v9 row_shl:1 row_mask:0xf bank_mask:0xf bound_ctrl:1
	s_bitcmp1_b32 exec_hi, 0
	s_nop 0
	v_or_b32_dpp v1, v1, v1 row_shl:2 row_mask:0xf bank_mask:0xf bound_ctrl:1
	s_nop 1
	v_or_b32_dpp v1, v1, v1 row_shl:4 row_mask:0xf bank_mask:0xf bound_ctrl:1
	;; [unrolled: 2-line block ×3, first 2 shown]
	s_nop 1
	v_mov_b32_dpp v2, v1 wave_shl:1 row_mask:0xf bank_mask:0xf bound_ctrl:1
	s_nop 1
	v_or_b32_dpp v1, v2, v1 row_mirror row_mask:0xf bank_mask:0xf bound_ctrl:1
	v_readlane_b32 s7, v1, 32
	s_cselect_b32 s7, s7, 0
	v_readlane_b32 s10, v1, 0
	s_or_b32 s7, s7, s10
	s_and_b64 vcc, exec, s[8:9]
	v_mov_b32_e32 v1, s7
	s_cbranch_vccnz .LBB6_77
; %bb.71:
	v_mad_u64_u32 v[1:2], s[10:11], v24, v23, v[0:1]
	v_lshrrev_b32_e32 v2, 6, v1
	v_or_b32_e32 v2, v2, v22
	v_cmp_eq_u32_e32 vcc, 0, v2
	s_and_saveexec_b64 s[10:11], vcc
; %bb.72:
	v_mov_b32_e32 v2, 0
	v_mov_b32_e32 v9, s7
	ds_write_b32 v2, v9
; %bb.73:
	s_or_b64 exec, exec, s[10:11]
	v_cmp_eq_u32_e32 vcc, 0, v22
	v_cmp_lt_u32_e64 s[10:11], 63, v1
	s_and_b64 s[18:19], vcc, s[10:11]
	s_waitcnt lgkmcnt(0)
	s_barrier
	s_and_saveexec_b64 s[10:11], s[18:19]
	s_cbranch_execz .LBB6_76
; %bb.74:
	v_mbcnt_lo_u32_b32 v1, exec_lo, 0
	v_mbcnt_hi_u32_b32 v1, exec_hi, v1
	v_cmp_eq_u32_e32 vcc, 0, v1
	s_and_b64 exec, exec, vcc
; %bb.75:
	v_mov_b32_e32 v1, 0
	v_mov_b32_e32 v2, s7
	ds_or_b32 v1, v2
.LBB6_76:
	s_or_b64 exec, exec, s[10:11]
	v_mov_b32_e32 v1, 0
	s_waitcnt lgkmcnt(0)
	s_barrier
	ds_read_b32 v1, v1
	s_waitcnt lgkmcnt(0)
	s_barrier
.LBB6_77:
	v_cmp_eq_u32_e32 vcc, 0, v1
	s_cbranch_vccnz .LBB6_91
; %bb.78:
	v_cmp_gt_i32_e32 vcc, s34, v0
	v_mov_b32_e32 v1, -1
	v_mov_b32_e32 v2, 0x7fefffff
	buffer_wbinvl1_vol
	s_and_saveexec_b64 s[18:19], vcc
	s_cbranch_execz .LBB6_82
; %bb.79:
	v_lshlrev_b32_e32 v9, 3, v0
	v_mov_b32_e32 v10, s39
	v_add_co_u32_e32 v9, vcc, s38, v9
	v_addc_co_u32_e32 v10, vcc, 0, v10, vcc
	s_mov_b64 s[26:27], 0
	v_mov_b32_e32 v11, v0
.LBB6_80:                               ; =>This Inner Loop Header: Depth=1
	global_load_dwordx2 v[12:13], v[9:10], off
	v_add_co_u32_e32 v9, vcc, 0x800, v9
	v_add_u32_e32 v11, 0x100, v11
	v_addc_co_u32_e32 v10, vcc, 0, v10, vcc
	v_cmp_le_i32_e32 vcc, s34, v11
	s_or_b64 s[26:27], vcc, s[26:27]
	s_waitcnt vmcnt(0)
	v_cmp_lt_f64_e64 s[10:11], v[12:13], v[1:2]
	v_cndmask_b32_e64 v2, v2, v13, s[10:11]
	v_cndmask_b32_e64 v1, v1, v12, s[10:11]
	s_andn2_b64 exec, exec, s[26:27]
	s_cbranch_execnz .LBB6_80
; %bb.81:
	s_or_b64 exec, exec, s[26:27]
.LBB6_82:
	s_or_b64 exec, exec, s[18:19]
	ds_bpermute_b32 v9, v18, v1
	ds_bpermute_b32 v10, v18, v2
	s_waitcnt lgkmcnt(0)
	v_cmp_gt_f64_e32 vcc, v[1:2], v[9:10]
	v_cndmask_b32_e32 v2, v2, v10, vcc
	v_cndmask_b32_e32 v1, v1, v9, vcc
	ds_bpermute_b32 v10, v17, v2
	ds_bpermute_b32 v9, v17, v1
	s_waitcnt lgkmcnt(0)
	v_cmp_gt_f64_e32 vcc, v[1:2], v[9:10]
	v_cndmask_b32_e32 v2, v2, v10, vcc
	v_cndmask_b32_e32 v1, v1, v9, vcc
	;; [unrolled: 6-line block ×6, first 2 shown]
	s_and_saveexec_b64 s[10:11], s[2:3]
; %bb.83:
	v_lshrrev_b32_e32 v9, 3, v0
	ds_write_b64 v9, v[1:2] offset:512
; %bb.84:
	s_or_b64 exec, exec, s[10:11]
	s_waitcnt lgkmcnt(0)
	s_barrier
	s_and_saveexec_b64 s[10:11], s[4:5]
	s_cbranch_execz .LBB6_88
; %bb.85:
	v_cmp_gt_u32_e32 vcc, 4, v19
	v_mov_b32_e32 v1, -1
	v_mov_b32_e32 v2, 0x7fefffff
	s_and_saveexec_b64 s[18:19], vcc
; %bb.86:
	v_lshlrev_b32_e32 v1, 3, v19
	ds_read_b64 v[1:2], v1 offset:512
; %bb.87:
	s_or_b64 exec, exec, s[18:19]
	s_waitcnt lgkmcnt(0)
	ds_bpermute_b32 v11, v18, v2
	ds_bpermute_b32 v9, v18, v1
	s_waitcnt lgkmcnt(1)
	v_mov_b32_e32 v10, v11
	s_waitcnt lgkmcnt(0)
	v_cmp_gt_f64_e32 vcc, v[1:2], v[9:10]
	v_cndmask_b32_e32 v2, v2, v11, vcc
	ds_bpermute_b32 v11, v17, v2
	v_cndmask_b32_e32 v1, v1, v9, vcc
	ds_bpermute_b32 v9, v17, v1
	s_waitcnt lgkmcnt(1)
	v_mov_b32_e32 v10, v11
	s_waitcnt lgkmcnt(0)
	v_cmp_gt_f64_e32 vcc, v[1:2], v[9:10]
	v_cndmask_b32_e32 v2, v2, v11, vcc
	ds_bpermute_b32 v11, v16, v2
	v_cndmask_b32_e32 v1, v1, v9, vcc
	ds_bpermute_b32 v9, v16, v1
	s_waitcnt lgkmcnt(1)
	v_mov_b32_e32 v10, v11
	s_waitcnt lgkmcnt(0)
	v_cmp_gt_f64_e32 vcc, v[1:2], v[9:10]
	v_cndmask_b32_e32 v2, v2, v11, vcc
	v_cndmask_b32_e32 v1, v1, v9, vcc
	ds_bpermute_b32 v11, v15, v2
	ds_bpermute_b32 v9, v15, v1
	s_waitcnt lgkmcnt(1)
	v_mov_b32_e32 v10, v11
	s_waitcnt lgkmcnt(0)
	v_cmp_gt_f64_e32 vcc, v[1:2], v[9:10]
	v_cndmask_b32_e32 v2, v2, v11, vcc
	v_cndmask_b32_e32 v1, v1, v9, vcc
.LBB6_88:
	s_or_b64 exec, exec, s[10:11]
	s_barrier
	s_and_saveexec_b64 s[10:11], s[0:1]
	s_cbranch_execz .LBB6_90
; %bb.89:
	v_mov_b32_e32 v9, 0
	global_store_dwordx2 v9, v[1:2], s[36:37]
.LBB6_90:
	s_or_b64 exec, exec, s[10:11]
.LBB6_91:
	ds_bpermute_b32 v1, v18, v7
	ds_bpermute_b32 v2, v18, v8
	s_waitcnt lgkmcnt(0)
	v_cmp_gt_f64_e32 vcc, v[7:8], v[1:2]
	v_cndmask_b32_e32 v2, v8, v2, vcc
	v_cndmask_b32_e32 v1, v7, v1, vcc
	ds_bpermute_b32 v8, v17, v2
	ds_bpermute_b32 v7, v17, v1
	s_waitcnt lgkmcnt(0)
	v_cmp_gt_f64_e32 vcc, v[1:2], v[7:8]
	v_cndmask_b32_e32 v2, v2, v8, vcc
	v_cndmask_b32_e32 v1, v1, v7, vcc
	;; [unrolled: 6-line block ×6, first 2 shown]
	s_and_saveexec_b64 s[10:11], s[2:3]
; %bb.92:
	v_lshrrev_b32_e32 v7, 3, v0
	ds_write_b64 v7, v[1:2] offset:512
; %bb.93:
	s_or_b64 exec, exec, s[10:11]
	s_waitcnt vmcnt(0) lgkmcnt(0)
	s_barrier
	s_and_saveexec_b64 s[10:11], s[4:5]
	s_cbranch_execz .LBB6_97
; %bb.94:
	v_cmp_gt_u32_e32 vcc, 4, v19
	v_mov_b32_e32 v1, -1
	v_mov_b32_e32 v2, 0x7fefffff
	s_and_saveexec_b64 s[18:19], vcc
; %bb.95:
	v_lshlrev_b32_e32 v1, 3, v19
	ds_read_b64 v[1:2], v1 offset:512
; %bb.96:
	s_or_b64 exec, exec, s[18:19]
	s_waitcnt lgkmcnt(0)
	ds_bpermute_b32 v9, v18, v2
	ds_bpermute_b32 v7, v18, v1
	s_waitcnt lgkmcnt(1)
	v_mov_b32_e32 v8, v9
	s_waitcnt lgkmcnt(0)
	v_cmp_gt_f64_e32 vcc, v[1:2], v[7:8]
	v_cndmask_b32_e32 v2, v2, v9, vcc
	ds_bpermute_b32 v9, v17, v2
	v_cndmask_b32_e32 v1, v1, v7, vcc
	ds_bpermute_b32 v7, v17, v1
	s_waitcnt lgkmcnt(1)
	v_mov_b32_e32 v8, v9
	s_waitcnt lgkmcnt(0)
	v_cmp_gt_f64_e32 vcc, v[1:2], v[7:8]
	v_cndmask_b32_e32 v2, v2, v9, vcc
	ds_bpermute_b32 v9, v16, v2
	v_cndmask_b32_e32 v1, v1, v7, vcc
	ds_bpermute_b32 v7, v16, v1
	s_waitcnt lgkmcnt(1)
	v_mov_b32_e32 v8, v9
	s_waitcnt lgkmcnt(0)
	v_cmp_gt_f64_e32 vcc, v[1:2], v[7:8]
	v_cndmask_b32_e32 v2, v2, v9, vcc
	v_cndmask_b32_e32 v1, v1, v7, vcc
	ds_bpermute_b32 v9, v15, v2
	ds_bpermute_b32 v7, v15, v1
	s_waitcnt lgkmcnt(1)
	v_mov_b32_e32 v8, v9
	s_waitcnt lgkmcnt(0)
	v_cmp_gt_f64_e32 vcc, v[1:2], v[7:8]
	v_cndmask_b32_e32 v2, v2, v9, vcc
	v_cndmask_b32_e32 v1, v1, v7, vcc
.LBB6_97:
	s_or_b64 exec, exec, s[10:11]
	v_mov_b32_e32 v7, 0
	s_barrier
	s_and_saveexec_b64 s[10:11], s[0:1]
	s_cbranch_execz .LBB6_99
; %bb.98:
	s_ashr_i32 s7, s6, 31
	s_add_i32 s26, s34, -1
	s_lshl_b64 s[18:19], s[6:7], 3
	s_add_u32 s18, s22, s18
	v_mov_b32_e32 v7, 0
	s_addc_u32 s19, s23, s19
	global_store_dwordx2 v7, v[1:2], s[18:19]
	v_mov_b32_e32 v1, s26
	s_waitcnt vmcnt(0)
	buffer_wbinvl1_vol
	global_atomic_inc v1, v7, v1, s[24:25] glc
	s_waitcnt vmcnt(0)
	v_cmp_eq_u32_e32 vcc, s26, v1
	v_cndmask_b32_e64 v7, 0, 1, vcc
.LBB6_99:
	s_or_b64 exec, exec, s[10:11]
	s_nop 0
	v_or_b32_dpp v1, v7, v7 row_shl:1 row_mask:0xf bank_mask:0xf bound_ctrl:1
	s_bitcmp1_b32 exec_hi, 0
	s_nop 0
	v_or_b32_dpp v1, v1, v1 row_shl:2 row_mask:0xf bank_mask:0xf bound_ctrl:1
	s_nop 1
	v_or_b32_dpp v1, v1, v1 row_shl:4 row_mask:0xf bank_mask:0xf bound_ctrl:1
	;; [unrolled: 2-line block ×3, first 2 shown]
	s_nop 1
	v_mov_b32_dpp v2, v1 wave_shl:1 row_mask:0xf bank_mask:0xf bound_ctrl:1
	s_nop 1
	v_or_b32_dpp v1, v2, v1 row_mirror row_mask:0xf bank_mask:0xf bound_ctrl:1
	v_readlane_b32 s7, v1, 32
	s_cselect_b32 s7, s7, 0
	v_readlane_b32 s10, v1, 0
	s_or_b32 s7, s7, s10
	s_and_b64 vcc, exec, s[8:9]
	v_mov_b32_e32 v1, s7
	s_cbranch_vccnz .LBB6_106
; %bb.100:
	v_mad_u64_u32 v[1:2], s[10:11], v24, v23, v[0:1]
	v_lshrrev_b32_e32 v2, 6, v1
	v_or_b32_e32 v2, v2, v22
	v_cmp_eq_u32_e32 vcc, 0, v2
	s_and_saveexec_b64 s[10:11], vcc
; %bb.101:
	v_mov_b32_e32 v2, 0
	v_mov_b32_e32 v7, s7
	ds_write_b32 v2, v7
; %bb.102:
	s_or_b64 exec, exec, s[10:11]
	v_cmp_eq_u32_e32 vcc, 0, v22
	v_cmp_lt_u32_e64 s[10:11], 63, v1
	s_and_b64 s[18:19], vcc, s[10:11]
	s_waitcnt lgkmcnt(0)
	s_barrier
	s_and_saveexec_b64 s[10:11], s[18:19]
	s_cbranch_execz .LBB6_105
; %bb.103:
	v_mbcnt_lo_u32_b32 v1, exec_lo, 0
	v_mbcnt_hi_u32_b32 v1, exec_hi, v1
	v_cmp_eq_u32_e32 vcc, 0, v1
	s_and_b64 exec, exec, vcc
; %bb.104:
	v_mov_b32_e32 v1, 0
	v_mov_b32_e32 v2, s7
	ds_or_b32 v1, v2
.LBB6_105:
	s_or_b64 exec, exec, s[10:11]
	v_mov_b32_e32 v1, 0
	s_waitcnt lgkmcnt(0)
	s_barrier
	ds_read_b32 v1, v1
	s_waitcnt lgkmcnt(0)
	s_barrier
.LBB6_106:
	v_cmp_eq_u32_e32 vcc, 0, v1
	s_cbranch_vccnz .LBB6_120
; %bb.107:
	v_cmp_gt_i32_e32 vcc, s34, v0
	v_mov_b32_e32 v1, -1
	v_mov_b32_e32 v2, 0x7fefffff
	buffer_wbinvl1_vol
	s_and_saveexec_b64 s[18:19], vcc
	s_cbranch_execz .LBB6_111
; %bb.108:
	v_lshlrev_b32_e32 v7, 3, v0
	v_mov_b32_e32 v8, s23
	v_add_co_u32_e32 v7, vcc, s22, v7
	v_addc_co_u32_e32 v8, vcc, 0, v8, vcc
	s_mov_b64 s[22:23], 0
	v_mov_b32_e32 v9, v0
.LBB6_109:                              ; =>This Inner Loop Header: Depth=1
	global_load_dwordx2 v[10:11], v[7:8], off
	v_add_co_u32_e32 v7, vcc, 0x800, v7
	v_add_u32_e32 v9, 0x100, v9
	v_addc_co_u32_e32 v8, vcc, 0, v8, vcc
	v_cmp_le_i32_e32 vcc, s34, v9
	s_or_b64 s[22:23], vcc, s[22:23]
	s_waitcnt vmcnt(0)
	v_cmp_lt_f64_e64 s[10:11], v[10:11], v[1:2]
	v_cndmask_b32_e64 v2, v2, v11, s[10:11]
	v_cndmask_b32_e64 v1, v1, v10, s[10:11]
	s_andn2_b64 exec, exec, s[22:23]
	s_cbranch_execnz .LBB6_109
; %bb.110:
	s_or_b64 exec, exec, s[22:23]
.LBB6_111:
	s_or_b64 exec, exec, s[18:19]
	ds_bpermute_b32 v7, v18, v1
	ds_bpermute_b32 v8, v18, v2
	s_waitcnt lgkmcnt(0)
	v_cmp_gt_f64_e32 vcc, v[1:2], v[7:8]
	v_cndmask_b32_e32 v2, v2, v8, vcc
	v_cndmask_b32_e32 v1, v1, v7, vcc
	ds_bpermute_b32 v8, v17, v2
	ds_bpermute_b32 v7, v17, v1
	s_waitcnt lgkmcnt(0)
	v_cmp_gt_f64_e32 vcc, v[1:2], v[7:8]
	v_cndmask_b32_e32 v2, v2, v8, vcc
	v_cndmask_b32_e32 v1, v1, v7, vcc
	ds_bpermute_b32 v8, v16, v2
	ds_bpermute_b32 v7, v16, v1
	s_waitcnt lgkmcnt(0)
	v_cmp_gt_f64_e32 vcc, v[1:2], v[7:8]
	v_cndmask_b32_e32 v2, v2, v8, vcc
	v_cndmask_b32_e32 v1, v1, v7, vcc
	ds_bpermute_b32 v8, v15, v2
	ds_bpermute_b32 v7, v15, v1
	s_waitcnt lgkmcnt(0)
	v_cmp_gt_f64_e32 vcc, v[1:2], v[7:8]
	v_cndmask_b32_e32 v2, v2, v8, vcc
	v_cndmask_b32_e32 v1, v1, v7, vcc
	ds_bpermute_b32 v8, v20, v2
	ds_bpermute_b32 v7, v20, v1
	s_waitcnt lgkmcnt(0)
	v_cmp_gt_f64_e32 vcc, v[1:2], v[7:8]
	v_cndmask_b32_e32 v2, v2, v8, vcc
	v_cndmask_b32_e32 v1, v1, v7, vcc
	ds_bpermute_b32 v7, v21, v1
	ds_bpermute_b32 v8, v21, v2
	s_waitcnt lgkmcnt(0)
	v_cmp_gt_f64_e32 vcc, v[1:2], v[7:8]
	v_cndmask_b32_e32 v2, v2, v8, vcc
	v_cndmask_b32_e32 v1, v1, v7, vcc
	s_and_saveexec_b64 s[10:11], s[2:3]
; %bb.112:
	v_lshrrev_b32_e32 v7, 3, v0
	ds_write_b64 v7, v[1:2] offset:512
; %bb.113:
	s_or_b64 exec, exec, s[10:11]
	s_waitcnt lgkmcnt(0)
	s_barrier
	s_and_saveexec_b64 s[10:11], s[4:5]
	s_cbranch_execz .LBB6_117
; %bb.114:
	v_cmp_gt_u32_e32 vcc, 4, v19
	v_mov_b32_e32 v1, -1
	v_mov_b32_e32 v2, 0x7fefffff
	s_and_saveexec_b64 s[18:19], vcc
; %bb.115:
	v_lshlrev_b32_e32 v1, 3, v19
	ds_read_b64 v[1:2], v1 offset:512
; %bb.116:
	s_or_b64 exec, exec, s[18:19]
	s_waitcnt lgkmcnt(0)
	ds_bpermute_b32 v9, v18, v2
	ds_bpermute_b32 v7, v18, v1
	s_waitcnt lgkmcnt(1)
	v_mov_b32_e32 v8, v9
	s_waitcnt lgkmcnt(0)
	v_cmp_gt_f64_e32 vcc, v[1:2], v[7:8]
	v_cndmask_b32_e32 v2, v2, v9, vcc
	ds_bpermute_b32 v9, v17, v2
	v_cndmask_b32_e32 v1, v1, v7, vcc
	ds_bpermute_b32 v7, v17, v1
	s_waitcnt lgkmcnt(1)
	v_mov_b32_e32 v8, v9
	s_waitcnt lgkmcnt(0)
	v_cmp_gt_f64_e32 vcc, v[1:2], v[7:8]
	v_cndmask_b32_e32 v2, v2, v9, vcc
	ds_bpermute_b32 v9, v16, v2
	v_cndmask_b32_e32 v1, v1, v7, vcc
	ds_bpermute_b32 v7, v16, v1
	s_waitcnt lgkmcnt(1)
	v_mov_b32_e32 v8, v9
	s_waitcnt lgkmcnt(0)
	v_cmp_gt_f64_e32 vcc, v[1:2], v[7:8]
	v_cndmask_b32_e32 v2, v2, v9, vcc
	v_cndmask_b32_e32 v1, v1, v7, vcc
	ds_bpermute_b32 v9, v15, v2
	ds_bpermute_b32 v7, v15, v1
	s_waitcnt lgkmcnt(1)
	v_mov_b32_e32 v8, v9
	s_waitcnt lgkmcnt(0)
	v_cmp_gt_f64_e32 vcc, v[1:2], v[7:8]
	v_cndmask_b32_e32 v2, v2, v9, vcc
	v_cndmask_b32_e32 v1, v1, v7, vcc
.LBB6_117:
	s_or_b64 exec, exec, s[10:11]
	s_barrier
	s_and_saveexec_b64 s[10:11], s[0:1]
	s_cbranch_execz .LBB6_119
; %bb.118:
	v_mov_b32_e32 v7, 0
	global_store_dwordx2 v7, v[1:2], s[20:21]
.LBB6_119:
	s_or_b64 exec, exec, s[10:11]
.LBB6_120:
	ds_bpermute_b32 v1, v18, v5
	ds_bpermute_b32 v2, v18, v6
	s_waitcnt lgkmcnt(0)
	v_cmp_lt_f64_e32 vcc, v[5:6], v[1:2]
	v_cndmask_b32_e32 v2, v6, v2, vcc
	v_cndmask_b32_e32 v1, v5, v1, vcc
	ds_bpermute_b32 v6, v17, v2
	ds_bpermute_b32 v5, v17, v1
	s_waitcnt lgkmcnt(0)
	v_cmp_lt_f64_e32 vcc, v[1:2], v[5:6]
	v_cndmask_b32_e32 v2, v2, v6, vcc
	v_cndmask_b32_e32 v1, v1, v5, vcc
	;; [unrolled: 6-line block ×6, first 2 shown]
	s_and_saveexec_b64 s[10:11], s[2:3]
; %bb.121:
	v_lshrrev_b32_e32 v5, 3, v0
	ds_write_b64 v5, v[1:2] offset:384
; %bb.122:
	s_or_b64 exec, exec, s[10:11]
	s_waitcnt vmcnt(0) lgkmcnt(0)
	s_barrier
	s_and_saveexec_b64 s[10:11], s[4:5]
	s_cbranch_execz .LBB6_126
; %bb.123:
	v_cmp_gt_u32_e32 vcc, 4, v19
	v_mov_b32_e32 v1, -1
	v_mov_b32_e32 v2, 0xffefffff
	s_and_saveexec_b64 s[18:19], vcc
; %bb.124:
	v_lshlrev_b32_e32 v1, 3, v19
	ds_read_b64 v[1:2], v1 offset:384
; %bb.125:
	s_or_b64 exec, exec, s[18:19]
	s_waitcnt lgkmcnt(0)
	ds_bpermute_b32 v7, v18, v2
	ds_bpermute_b32 v5, v18, v1
	s_waitcnt lgkmcnt(1)
	v_mov_b32_e32 v6, v7
	s_waitcnt lgkmcnt(0)
	v_cmp_lt_f64_e32 vcc, v[1:2], v[5:6]
	v_cndmask_b32_e32 v2, v2, v7, vcc
	ds_bpermute_b32 v7, v17, v2
	v_cndmask_b32_e32 v1, v1, v5, vcc
	ds_bpermute_b32 v5, v17, v1
	s_waitcnt lgkmcnt(1)
	v_mov_b32_e32 v6, v7
	s_waitcnt lgkmcnt(0)
	v_cmp_lt_f64_e32 vcc, v[1:2], v[5:6]
	v_cndmask_b32_e32 v2, v2, v7, vcc
	ds_bpermute_b32 v7, v16, v2
	v_cndmask_b32_e32 v1, v1, v5, vcc
	ds_bpermute_b32 v5, v16, v1
	s_waitcnt lgkmcnt(1)
	v_mov_b32_e32 v6, v7
	s_waitcnt lgkmcnt(0)
	v_cmp_lt_f64_e32 vcc, v[1:2], v[5:6]
	v_cndmask_b32_e32 v2, v2, v7, vcc
	v_cndmask_b32_e32 v1, v1, v5, vcc
	ds_bpermute_b32 v7, v15, v2
	ds_bpermute_b32 v5, v15, v1
	s_waitcnt lgkmcnt(1)
	v_mov_b32_e32 v6, v7
	s_waitcnt lgkmcnt(0)
	v_cmp_lt_f64_e32 vcc, v[1:2], v[5:6]
	v_cndmask_b32_e32 v2, v2, v7, vcc
	v_cndmask_b32_e32 v1, v1, v5, vcc
.LBB6_126:
	s_or_b64 exec, exec, s[10:11]
	v_mov_b32_e32 v5, 0
	s_barrier
	s_and_saveexec_b64 s[10:11], s[0:1]
	s_cbranch_execz .LBB6_128
; %bb.127:
	s_ashr_i32 s7, s6, 31
	s_add_i32 s20, s34, -1
	s_lshl_b64 s[18:19], s[6:7], 3
	s_add_u32 s18, s14, s18
	v_mov_b32_e32 v5, 0
	s_addc_u32 s19, s15, s19
	global_store_dwordx2 v5, v[1:2], s[18:19]
	v_mov_b32_e32 v1, s20
	s_waitcnt vmcnt(0)
	buffer_wbinvl1_vol
	global_atomic_inc v1, v5, v1, s[16:17] glc
	s_waitcnt vmcnt(0)
	v_cmp_eq_u32_e32 vcc, s20, v1
	v_cndmask_b32_e64 v5, 0, 1, vcc
.LBB6_128:
	s_or_b64 exec, exec, s[10:11]
	s_nop 0
	v_or_b32_dpp v1, v5, v5 row_shl:1 row_mask:0xf bank_mask:0xf bound_ctrl:1
	s_bitcmp1_b32 exec_hi, 0
	s_nop 0
	v_or_b32_dpp v1, v1, v1 row_shl:2 row_mask:0xf bank_mask:0xf bound_ctrl:1
	s_nop 1
	v_or_b32_dpp v1, v1, v1 row_shl:4 row_mask:0xf bank_mask:0xf bound_ctrl:1
	;; [unrolled: 2-line block ×3, first 2 shown]
	s_nop 1
	v_mov_b32_dpp v2, v1 wave_shl:1 row_mask:0xf bank_mask:0xf bound_ctrl:1
	s_nop 1
	v_or_b32_dpp v1, v2, v1 row_mirror row_mask:0xf bank_mask:0xf bound_ctrl:1
	v_readlane_b32 s7, v1, 32
	s_cselect_b32 s7, s7, 0
	v_readlane_b32 s10, v1, 0
	s_or_b32 s7, s7, s10
	s_and_b64 vcc, exec, s[8:9]
	v_mov_b32_e32 v1, s7
	s_cbranch_vccnz .LBB6_135
; %bb.129:
	v_mad_u64_u32 v[1:2], s[10:11], v24, v23, v[0:1]
	v_lshrrev_b32_e32 v2, 6, v1
	v_or_b32_e32 v2, v2, v22
	v_cmp_eq_u32_e32 vcc, 0, v2
	s_and_saveexec_b64 s[10:11], vcc
; %bb.130:
	v_mov_b32_e32 v2, 0
	v_mov_b32_e32 v5, s7
	ds_write_b32 v2, v5
; %bb.131:
	s_or_b64 exec, exec, s[10:11]
	v_cmp_eq_u32_e32 vcc, 0, v22
	v_cmp_lt_u32_e64 s[10:11], 63, v1
	s_and_b64 s[16:17], vcc, s[10:11]
	s_waitcnt lgkmcnt(0)
	s_barrier
	s_and_saveexec_b64 s[10:11], s[16:17]
	s_cbranch_execz .LBB6_134
; %bb.132:
	v_mbcnt_lo_u32_b32 v1, exec_lo, 0
	v_mbcnt_hi_u32_b32 v1, exec_hi, v1
	v_cmp_eq_u32_e32 vcc, 0, v1
	s_and_b64 exec, exec, vcc
; %bb.133:
	v_mov_b32_e32 v1, 0
	v_mov_b32_e32 v2, s7
	ds_or_b32 v1, v2
.LBB6_134:
	s_or_b64 exec, exec, s[10:11]
	v_mov_b32_e32 v1, 0
	s_waitcnt lgkmcnt(0)
	s_barrier
	ds_read_b32 v1, v1
	s_waitcnt lgkmcnt(0)
	s_barrier
.LBB6_135:
	v_cmp_eq_u32_e32 vcc, 0, v1
	s_cbranch_vccnz .LBB6_149
; %bb.136:
	v_cmp_gt_i32_e32 vcc, s34, v0
	v_mov_b32_e32 v1, -1
	v_mov_b32_e32 v2, 0xffefffff
	buffer_wbinvl1_vol
	s_and_saveexec_b64 s[16:17], vcc
	s_cbranch_execz .LBB6_140
; %bb.137:
	v_lshlrev_b32_e32 v5, 3, v0
	v_mov_b32_e32 v6, s15
	v_add_co_u32_e32 v5, vcc, s14, v5
	v_addc_co_u32_e32 v6, vcc, 0, v6, vcc
	s_mov_b64 s[14:15], 0
	v_mov_b32_e32 v7, v0
.LBB6_138:                              ; =>This Inner Loop Header: Depth=1
	global_load_dwordx2 v[8:9], v[5:6], off
	v_add_co_u32_e32 v5, vcc, 0x800, v5
	v_add_u32_e32 v7, 0x100, v7
	v_addc_co_u32_e32 v6, vcc, 0, v6, vcc
	v_cmp_le_i32_e32 vcc, s34, v7
	s_or_b64 s[14:15], vcc, s[14:15]
	s_waitcnt vmcnt(0)
	v_cmp_lt_f64_e64 s[10:11], v[1:2], v[8:9]
	v_cndmask_b32_e64 v2, v2, v9, s[10:11]
	v_cndmask_b32_e64 v1, v1, v8, s[10:11]
	s_andn2_b64 exec, exec, s[14:15]
	s_cbranch_execnz .LBB6_138
; %bb.139:
	s_or_b64 exec, exec, s[14:15]
.LBB6_140:
	s_or_b64 exec, exec, s[16:17]
	ds_bpermute_b32 v5, v18, v1
	ds_bpermute_b32 v6, v18, v2
	s_waitcnt lgkmcnt(0)
	v_cmp_lt_f64_e32 vcc, v[1:2], v[5:6]
	v_cndmask_b32_e32 v2, v2, v6, vcc
	v_cndmask_b32_e32 v1, v1, v5, vcc
	ds_bpermute_b32 v6, v17, v2
	ds_bpermute_b32 v5, v17, v1
	s_waitcnt lgkmcnt(0)
	v_cmp_lt_f64_e32 vcc, v[1:2], v[5:6]
	v_cndmask_b32_e32 v2, v2, v6, vcc
	v_cndmask_b32_e32 v1, v1, v5, vcc
	;; [unrolled: 6-line block ×6, first 2 shown]
	s_and_saveexec_b64 s[10:11], s[2:3]
; %bb.141:
	v_lshrrev_b32_e32 v5, 3, v0
	ds_write_b64 v5, v[1:2] offset:384
; %bb.142:
	s_or_b64 exec, exec, s[10:11]
	s_waitcnt lgkmcnt(0)
	s_barrier
	s_and_saveexec_b64 s[10:11], s[4:5]
	s_cbranch_execz .LBB6_146
; %bb.143:
	v_cmp_gt_u32_e32 vcc, 4, v19
	v_mov_b32_e32 v1, -1
	v_mov_b32_e32 v2, 0xffefffff
	s_and_saveexec_b64 s[14:15], vcc
; %bb.144:
	v_lshlrev_b32_e32 v1, 3, v19
	ds_read_b64 v[1:2], v1 offset:384
; %bb.145:
	s_or_b64 exec, exec, s[14:15]
	s_waitcnt lgkmcnt(0)
	ds_bpermute_b32 v7, v18, v2
	ds_bpermute_b32 v5, v18, v1
	s_waitcnt lgkmcnt(1)
	v_mov_b32_e32 v6, v7
	s_waitcnt lgkmcnt(0)
	v_cmp_lt_f64_e32 vcc, v[1:2], v[5:6]
	v_cndmask_b32_e32 v2, v2, v7, vcc
	ds_bpermute_b32 v7, v17, v2
	v_cndmask_b32_e32 v1, v1, v5, vcc
	ds_bpermute_b32 v5, v17, v1
	s_waitcnt lgkmcnt(1)
	v_mov_b32_e32 v6, v7
	s_waitcnt lgkmcnt(0)
	v_cmp_lt_f64_e32 vcc, v[1:2], v[5:6]
	v_cndmask_b32_e32 v2, v2, v7, vcc
	ds_bpermute_b32 v7, v16, v2
	v_cndmask_b32_e32 v1, v1, v5, vcc
	ds_bpermute_b32 v5, v16, v1
	s_waitcnt lgkmcnt(1)
	v_mov_b32_e32 v6, v7
	s_waitcnt lgkmcnt(0)
	v_cmp_lt_f64_e32 vcc, v[1:2], v[5:6]
	v_cndmask_b32_e32 v2, v2, v7, vcc
	v_cndmask_b32_e32 v1, v1, v5, vcc
	ds_bpermute_b32 v7, v15, v2
	ds_bpermute_b32 v5, v15, v1
	s_waitcnt lgkmcnt(1)
	v_mov_b32_e32 v6, v7
	s_waitcnt lgkmcnt(0)
	v_cmp_lt_f64_e32 vcc, v[1:2], v[5:6]
	v_cndmask_b32_e32 v2, v2, v7, vcc
	v_cndmask_b32_e32 v1, v1, v5, vcc
.LBB6_146:
	s_or_b64 exec, exec, s[10:11]
	s_barrier
	s_and_saveexec_b64 s[10:11], s[0:1]
	s_cbranch_execz .LBB6_148
; %bb.147:
	v_mov_b32_e32 v5, 0
	global_store_dwordx2 v5, v[1:2], s[12:13]
.LBB6_148:
	s_or_b64 exec, exec, s[10:11]
.LBB6_149:
	ds_bpermute_b32 v1, v18, v3
	ds_bpermute_b32 v2, v18, v4
	s_waitcnt lgkmcnt(0)
	v_cmp_lt_f64_e32 vcc, v[3:4], v[1:2]
	v_cndmask_b32_e32 v2, v4, v2, vcc
	v_cndmask_b32_e32 v1, v3, v1, vcc
	ds_bpermute_b32 v4, v17, v2
	ds_bpermute_b32 v3, v17, v1
	s_waitcnt lgkmcnt(0)
	v_cmp_lt_f64_e32 vcc, v[1:2], v[3:4]
	v_cndmask_b32_e32 v2, v2, v4, vcc
	v_cndmask_b32_e32 v1, v1, v3, vcc
	;; [unrolled: 6-line block ×6, first 2 shown]
	s_and_saveexec_b64 s[10:11], s[2:3]
; %bb.150:
	v_lshrrev_b32_e32 v3, 3, v0
	ds_write_b64 v3, v[1:2] offset:384
; %bb.151:
	s_or_b64 exec, exec, s[10:11]
	s_waitcnt vmcnt(0) lgkmcnt(0)
	s_barrier
	s_and_saveexec_b64 s[10:11], s[4:5]
	s_cbranch_execz .LBB6_155
; %bb.152:
	v_cmp_gt_u32_e32 vcc, 4, v19
	v_mov_b32_e32 v1, -1
	v_mov_b32_e32 v2, 0xffefffff
	s_and_saveexec_b64 s[12:13], vcc
; %bb.153:
	v_lshlrev_b32_e32 v1, 3, v19
	ds_read_b64 v[1:2], v1 offset:384
; %bb.154:
	s_or_b64 exec, exec, s[12:13]
	s_waitcnt lgkmcnt(0)
	ds_bpermute_b32 v5, v18, v2
	ds_bpermute_b32 v3, v18, v1
	s_waitcnt lgkmcnt(1)
	v_mov_b32_e32 v4, v5
	s_waitcnt lgkmcnt(0)
	v_cmp_lt_f64_e32 vcc, v[1:2], v[3:4]
	v_cndmask_b32_e32 v2, v2, v5, vcc
	ds_bpermute_b32 v5, v17, v2
	v_cndmask_b32_e32 v1, v1, v3, vcc
	ds_bpermute_b32 v3, v17, v1
	s_waitcnt lgkmcnt(1)
	v_mov_b32_e32 v4, v5
	s_waitcnt lgkmcnt(0)
	v_cmp_lt_f64_e32 vcc, v[1:2], v[3:4]
	v_cndmask_b32_e32 v2, v2, v5, vcc
	ds_bpermute_b32 v5, v16, v2
	v_cndmask_b32_e32 v1, v1, v3, vcc
	ds_bpermute_b32 v3, v16, v1
	s_waitcnt lgkmcnt(1)
	v_mov_b32_e32 v4, v5
	s_waitcnt lgkmcnt(0)
	v_cmp_lt_f64_e32 vcc, v[1:2], v[3:4]
	v_cndmask_b32_e32 v2, v2, v5, vcc
	v_cndmask_b32_e32 v1, v1, v3, vcc
	ds_bpermute_b32 v5, v15, v2
	ds_bpermute_b32 v3, v15, v1
	s_waitcnt lgkmcnt(1)
	v_mov_b32_e32 v4, v5
	s_waitcnt lgkmcnt(0)
	v_cmp_lt_f64_e32 vcc, v[1:2], v[3:4]
	v_cndmask_b32_e32 v2, v2, v5, vcc
	v_cndmask_b32_e32 v1, v1, v3, vcc
.LBB6_155:
	s_or_b64 exec, exec, s[10:11]
	v_mov_b32_e32 v3, 0
	s_barrier
	s_and_saveexec_b64 s[10:11], s[0:1]
	s_cbranch_execz .LBB6_157
; %bb.156:
	s_ashr_i32 s7, s6, 31
	s_add_i32 s12, s34, -1
	s_lshl_b64 s[6:7], s[6:7], 3
	s_add_u32 s6, s30, s6
	v_mov_b32_e32 v3, 0
	s_addc_u32 s7, s31, s7
	global_store_dwordx2 v3, v[1:2], s[6:7]
	v_mov_b32_e32 v1, s12
	s_waitcnt vmcnt(0)
	buffer_wbinvl1_vol
	global_atomic_inc v1, v3, v1, s[68:69] glc
	s_waitcnt vmcnt(0)
	v_cmp_eq_u32_e32 vcc, s12, v1
	v_cndmask_b32_e64 v3, 0, 1, vcc
.LBB6_157:
	s_or_b64 exec, exec, s[10:11]
	s_nop 0
	v_or_b32_dpp v1, v3, v3 row_shl:1 row_mask:0xf bank_mask:0xf bound_ctrl:1
	s_bitcmp1_b32 exec_hi, 0
	s_nop 0
	v_or_b32_dpp v1, v1, v1 row_shl:2 row_mask:0xf bank_mask:0xf bound_ctrl:1
	s_nop 1
	v_or_b32_dpp v1, v1, v1 row_shl:4 row_mask:0xf bank_mask:0xf bound_ctrl:1
	;; [unrolled: 2-line block ×3, first 2 shown]
	s_nop 1
	v_mov_b32_dpp v2, v1 wave_shl:1 row_mask:0xf bank_mask:0xf bound_ctrl:1
	s_nop 1
	v_or_b32_dpp v1, v2, v1 row_mirror row_mask:0xf bank_mask:0xf bound_ctrl:1
	v_readlane_b32 s6, v1, 32
	s_cselect_b32 s6, s6, 0
	v_readlane_b32 s7, v1, 0
	s_or_b32 s10, s6, s7
	s_and_b64 vcc, exec, s[8:9]
	v_mov_b32_e32 v1, s10
	s_cbranch_vccnz .LBB6_164
; %bb.158:
	v_mad_u64_u32 v[1:2], s[6:7], v24, v23, v[0:1]
	v_lshrrev_b32_e32 v2, 6, v1
	v_or_b32_e32 v2, v2, v22
	v_cmp_eq_u32_e32 vcc, 0, v2
	s_and_saveexec_b64 s[6:7], vcc
; %bb.159:
	v_mov_b32_e32 v2, 0
	v_mov_b32_e32 v3, s10
	ds_write_b32 v2, v3
; %bb.160:
	s_or_b64 exec, exec, s[6:7]
	v_cmp_eq_u32_e32 vcc, 0, v22
	v_cmp_lt_u32_e64 s[6:7], 63, v1
	s_and_b64 s[8:9], vcc, s[6:7]
	s_waitcnt lgkmcnt(0)
	s_barrier
	s_and_saveexec_b64 s[6:7], s[8:9]
	s_cbranch_execz .LBB6_163
; %bb.161:
	v_mbcnt_lo_u32_b32 v1, exec_lo, 0
	v_mbcnt_hi_u32_b32 v1, exec_hi, v1
	v_cmp_eq_u32_e32 vcc, 0, v1
	s_and_b64 exec, exec, vcc
; %bb.162:
	v_mov_b32_e32 v1, 0
	v_mov_b32_e32 v2, s10
	ds_or_b32 v1, v2
.LBB6_163:
	s_or_b64 exec, exec, s[6:7]
	v_mov_b32_e32 v1, 0
	s_waitcnt lgkmcnt(0)
	s_barrier
	ds_read_b32 v1, v1
	s_waitcnt lgkmcnt(0)
	s_barrier
.LBB6_164:
	v_cmp_eq_u32_e32 vcc, 0, v1
	s_cbranch_vccnz .LBB6_177
; %bb.165:
	v_cmp_gt_i32_e32 vcc, s34, v0
	v_mov_b32_e32 v1, -1
	v_mov_b32_e32 v2, 0xffefffff
	buffer_wbinvl1_vol
	s_and_saveexec_b64 s[8:9], vcc
	s_cbranch_execz .LBB6_169
; %bb.166:
	v_lshlrev_b32_e32 v3, 3, v0
	v_mov_b32_e32 v4, s31
	v_add_co_u32_e32 v3, vcc, s30, v3
	v_addc_co_u32_e32 v4, vcc, 0, v4, vcc
	s_mov_b64 s[10:11], 0
	v_mov_b32_e32 v5, v0
.LBB6_167:                              ; =>This Inner Loop Header: Depth=1
	global_load_dwordx2 v[6:7], v[3:4], off
	v_add_co_u32_e32 v3, vcc, 0x800, v3
	v_add_u32_e32 v5, 0x100, v5
	v_addc_co_u32_e32 v4, vcc, 0, v4, vcc
	v_cmp_le_i32_e32 vcc, s34, v5
	s_or_b64 s[10:11], vcc, s[10:11]
	s_waitcnt vmcnt(0)
	v_cmp_lt_f64_e64 s[6:7], v[1:2], v[6:7]
	v_cndmask_b32_e64 v2, v2, v7, s[6:7]
	v_cndmask_b32_e64 v1, v1, v6, s[6:7]
	s_andn2_b64 exec, exec, s[10:11]
	s_cbranch_execnz .LBB6_167
; %bb.168:
	s_or_b64 exec, exec, s[10:11]
.LBB6_169:
	s_or_b64 exec, exec, s[8:9]
	ds_bpermute_b32 v3, v18, v1
	ds_bpermute_b32 v4, v18, v2
	s_waitcnt lgkmcnt(0)
	v_cmp_lt_f64_e32 vcc, v[1:2], v[3:4]
	v_cndmask_b32_e32 v2, v2, v4, vcc
	v_cndmask_b32_e32 v1, v1, v3, vcc
	ds_bpermute_b32 v4, v17, v2
	ds_bpermute_b32 v3, v17, v1
	s_waitcnt lgkmcnt(0)
	v_cmp_lt_f64_e32 vcc, v[1:2], v[3:4]
	v_cndmask_b32_e32 v2, v2, v4, vcc
	v_cndmask_b32_e32 v1, v1, v3, vcc
	;; [unrolled: 6-line block ×6, first 2 shown]
	s_and_saveexec_b64 s[6:7], s[2:3]
; %bb.170:
	v_lshrrev_b32_e32 v0, 3, v0
	ds_write_b64 v0, v[1:2] offset:384
; %bb.171:
	s_or_b64 exec, exec, s[6:7]
	s_waitcnt lgkmcnt(0)
	s_barrier
	s_and_saveexec_b64 s[2:3], s[4:5]
	s_cbranch_execz .LBB6_175
; %bb.172:
	v_cmp_gt_u32_e32 vcc, 4, v19
	v_mov_b32_e32 v0, -1
	v_mov_b32_e32 v1, 0xffefffff
	s_and_saveexec_b64 s[4:5], vcc
; %bb.173:
	v_lshlrev_b32_e32 v0, 3, v19
	ds_read_b64 v[0:1], v0 offset:384
; %bb.174:
	s_or_b64 exec, exec, s[4:5]
	s_waitcnt lgkmcnt(0)
	ds_bpermute_b32 v4, v18, v1
	ds_bpermute_b32 v2, v18, v0
	s_waitcnt lgkmcnt(1)
	v_mov_b32_e32 v3, v4
	s_waitcnt lgkmcnt(0)
	v_cmp_lt_f64_e32 vcc, v[0:1], v[2:3]
	v_cndmask_b32_e32 v1, v1, v4, vcc
	ds_bpermute_b32 v4, v17, v1
	v_cndmask_b32_e32 v0, v0, v2, vcc
	ds_bpermute_b32 v2, v17, v0
	s_waitcnt lgkmcnt(1)
	v_mov_b32_e32 v3, v4
	s_waitcnt lgkmcnt(0)
	v_cmp_lt_f64_e32 vcc, v[0:1], v[2:3]
	v_cndmask_b32_e32 v1, v1, v4, vcc
	ds_bpermute_b32 v4, v16, v1
	v_cndmask_b32_e32 v0, v0, v2, vcc
	ds_bpermute_b32 v2, v16, v0
	s_waitcnt lgkmcnt(1)
	v_mov_b32_e32 v3, v4
	s_waitcnt lgkmcnt(0)
	v_cmp_lt_f64_e32 vcc, v[0:1], v[2:3]
	v_cndmask_b32_e32 v1, v1, v4, vcc
	v_cndmask_b32_e32 v0, v0, v2, vcc
	ds_bpermute_b32 v2, v15, v1
	ds_bpermute_b32 v3, v15, v0
	s_waitcnt lgkmcnt(1)
	v_mov_b32_e32 v4, v2
	s_waitcnt lgkmcnt(0)
	v_cmp_lt_f64_e32 vcc, v[0:1], v[3:4]
	v_cndmask_b32_e32 v2, v1, v2, vcc
	v_cndmask_b32_e32 v1, v0, v3, vcc
.LBB6_175:
	s_or_b64 exec, exec, s[2:3]
	s_barrier
	s_and_saveexec_b64 s[2:3], s[0:1]
	s_cbranch_execz .LBB6_177
; %bb.176:
	v_mov_b32_e32 v0, 0
	global_store_dwordx2 v0, v[1:2], s[28:29]
.LBB6_177:
	s_endpgm
	.section	.rodata,"a",@progbits
	.p2align	6, 0x0
	.amdhsa_kernel _ZN4RAJA6policy3hip4impl18forallp_hip_kernelINS1_8hip_execINS_17iteration_mapping11StridedLoopILm0EEENS_3hip11IndexGlobalILNS_9named_dimE0ELi256ELi0EEENS8_40AvoidDeviceMaxThreadOccupancyConcretizerINS8_34FractionOffsetOccupancyConcretizerINS_8FractionImLm1ELm1EEELln1EEEEELb1EEENS_9Iterators16numeric_iteratorIllPlEEZN8rajaperf5basic13REDUCE_STRUCT26runHipVariantRAJANewReduceILm256ENSN_11gpu_mapping40global_loop_occupancy_grid_stride_helperEEEvNSN_9VariantIDEEUllRNS_4expt5ValOpIdNS_9operators4plusEEESZ_RNSV_IdNSW_7minimumEEES12_RNSV_IdNSW_7maximumEEES15_E_lNSU_15ForallParamPackIJNSU_6detail7ReducerINSX_IdddEEdSY_EES1B_NS19_INS10_IdddEEdS11_EES1D_NS19_INS13_IdddEEdS14_EES1F_EEES7_SB_TnNSt9enable_ifIXaaaasr3std10is_base_ofINS5_15StridedLoopBaseET4_EE5valuesr3std10is_base_ofINS5_15UnsizedLoopBaseES1J_EE5valuegtsrT5_10block_sizeLi0EEmE4typeELm256EEEvT1_T0_T2_T3_
		.amdhsa_group_segment_fixed_size 640
		.amdhsa_private_segment_fixed_size 0
		.amdhsa_kernarg_size 528
		.amdhsa_user_sgpr_count 6
		.amdhsa_user_sgpr_private_segment_buffer 1
		.amdhsa_user_sgpr_dispatch_ptr 0
		.amdhsa_user_sgpr_queue_ptr 0
		.amdhsa_user_sgpr_kernarg_segment_ptr 1
		.amdhsa_user_sgpr_dispatch_id 0
		.amdhsa_user_sgpr_flat_scratch_init 0
		.amdhsa_user_sgpr_private_segment_size 0
		.amdhsa_uses_dynamic_stack 0
		.amdhsa_system_sgpr_private_segment_wavefront_offset 0
		.amdhsa_system_sgpr_workgroup_id_x 1
		.amdhsa_system_sgpr_workgroup_id_y 0
		.amdhsa_system_sgpr_workgroup_id_z 0
		.amdhsa_system_sgpr_workgroup_info 0
		.amdhsa_system_vgpr_workitem_id 2
		.amdhsa_next_free_vgpr 28
		.amdhsa_next_free_sgpr 74
		.amdhsa_reserve_vcc 1
		.amdhsa_reserve_flat_scratch 0
		.amdhsa_float_round_mode_32 0
		.amdhsa_float_round_mode_16_64 0
		.amdhsa_float_denorm_mode_32 3
		.amdhsa_float_denorm_mode_16_64 3
		.amdhsa_dx10_clamp 1
		.amdhsa_ieee_mode 1
		.amdhsa_fp16_overflow 0
		.amdhsa_exception_fp_ieee_invalid_op 0
		.amdhsa_exception_fp_denorm_src 0
		.amdhsa_exception_fp_ieee_div_zero 0
		.amdhsa_exception_fp_ieee_overflow 0
		.amdhsa_exception_fp_ieee_underflow 0
		.amdhsa_exception_fp_ieee_inexact 0
		.amdhsa_exception_int_div_zero 0
	.end_amdhsa_kernel
	.section	.text._ZN4RAJA6policy3hip4impl18forallp_hip_kernelINS1_8hip_execINS_17iteration_mapping11StridedLoopILm0EEENS_3hip11IndexGlobalILNS_9named_dimE0ELi256ELi0EEENS8_40AvoidDeviceMaxThreadOccupancyConcretizerINS8_34FractionOffsetOccupancyConcretizerINS_8FractionImLm1ELm1EEELln1EEEEELb1EEENS_9Iterators16numeric_iteratorIllPlEEZN8rajaperf5basic13REDUCE_STRUCT26runHipVariantRAJANewReduceILm256ENSN_11gpu_mapping40global_loop_occupancy_grid_stride_helperEEEvNSN_9VariantIDEEUllRNS_4expt5ValOpIdNS_9operators4plusEEESZ_RNSV_IdNSW_7minimumEEES12_RNSV_IdNSW_7maximumEEES15_E_lNSU_15ForallParamPackIJNSU_6detail7ReducerINSX_IdddEEdSY_EES1B_NS19_INS10_IdddEEdS11_EES1D_NS19_INS13_IdddEEdS14_EES1F_EEES7_SB_TnNSt9enable_ifIXaaaasr3std10is_base_ofINS5_15StridedLoopBaseET4_EE5valuesr3std10is_base_ofINS5_15UnsizedLoopBaseES1J_EE5valuegtsrT5_10block_sizeLi0EEmE4typeELm256EEEvT1_T0_T2_T3_,"axG",@progbits,_ZN4RAJA6policy3hip4impl18forallp_hip_kernelINS1_8hip_execINS_17iteration_mapping11StridedLoopILm0EEENS_3hip11IndexGlobalILNS_9named_dimE0ELi256ELi0EEENS8_40AvoidDeviceMaxThreadOccupancyConcretizerINS8_34FractionOffsetOccupancyConcretizerINS_8FractionImLm1ELm1EEELln1EEEEELb1EEENS_9Iterators16numeric_iteratorIllPlEEZN8rajaperf5basic13REDUCE_STRUCT26runHipVariantRAJANewReduceILm256ENSN_11gpu_mapping40global_loop_occupancy_grid_stride_helperEEEvNSN_9VariantIDEEUllRNS_4expt5ValOpIdNS_9operators4plusEEESZ_RNSV_IdNSW_7minimumEEES12_RNSV_IdNSW_7maximumEEES15_E_lNSU_15ForallParamPackIJNSU_6detail7ReducerINSX_IdddEEdSY_EES1B_NS19_INS10_IdddEEdS11_EES1D_NS19_INS13_IdddEEdS14_EES1F_EEES7_SB_TnNSt9enable_ifIXaaaasr3std10is_base_ofINS5_15StridedLoopBaseET4_EE5valuesr3std10is_base_ofINS5_15UnsizedLoopBaseES1J_EE5valuegtsrT5_10block_sizeLi0EEmE4typeELm256EEEvT1_T0_T2_T3_,comdat
.Lfunc_end6:
	.size	_ZN4RAJA6policy3hip4impl18forallp_hip_kernelINS1_8hip_execINS_17iteration_mapping11StridedLoopILm0EEENS_3hip11IndexGlobalILNS_9named_dimE0ELi256ELi0EEENS8_40AvoidDeviceMaxThreadOccupancyConcretizerINS8_34FractionOffsetOccupancyConcretizerINS_8FractionImLm1ELm1EEELln1EEEEELb1EEENS_9Iterators16numeric_iteratorIllPlEEZN8rajaperf5basic13REDUCE_STRUCT26runHipVariantRAJANewReduceILm256ENSN_11gpu_mapping40global_loop_occupancy_grid_stride_helperEEEvNSN_9VariantIDEEUllRNS_4expt5ValOpIdNS_9operators4plusEEESZ_RNSV_IdNSW_7minimumEEES12_RNSV_IdNSW_7maximumEEES15_E_lNSU_15ForallParamPackIJNSU_6detail7ReducerINSX_IdddEEdSY_EES1B_NS19_INS10_IdddEEdS11_EES1D_NS19_INS13_IdddEEdS14_EES1F_EEES7_SB_TnNSt9enable_ifIXaaaasr3std10is_base_ofINS5_15StridedLoopBaseET4_EE5valuesr3std10is_base_ofINS5_15UnsizedLoopBaseES1J_EE5valuegtsrT5_10block_sizeLi0EEmE4typeELm256EEEvT1_T0_T2_T3_, .Lfunc_end6-_ZN4RAJA6policy3hip4impl18forallp_hip_kernelINS1_8hip_execINS_17iteration_mapping11StridedLoopILm0EEENS_3hip11IndexGlobalILNS_9named_dimE0ELi256ELi0EEENS8_40AvoidDeviceMaxThreadOccupancyConcretizerINS8_34FractionOffsetOccupancyConcretizerINS_8FractionImLm1ELm1EEELln1EEEEELb1EEENS_9Iterators16numeric_iteratorIllPlEEZN8rajaperf5basic13REDUCE_STRUCT26runHipVariantRAJANewReduceILm256ENSN_11gpu_mapping40global_loop_occupancy_grid_stride_helperEEEvNSN_9VariantIDEEUllRNS_4expt5ValOpIdNS_9operators4plusEEESZ_RNSV_IdNSW_7minimumEEES12_RNSV_IdNSW_7maximumEEES15_E_lNSU_15ForallParamPackIJNSU_6detail7ReducerINSX_IdddEEdSY_EES1B_NS19_INS10_IdddEEdS11_EES1D_NS19_INS13_IdddEEdS14_EES1F_EEES7_SB_TnNSt9enable_ifIXaaaasr3std10is_base_ofINS5_15StridedLoopBaseET4_EE5valuesr3std10is_base_ofINS5_15UnsizedLoopBaseES1J_EE5valuegtsrT5_10block_sizeLi0EEmE4typeELm256EEEvT1_T0_T2_T3_
                                        ; -- End function
	.set _ZN4RAJA6policy3hip4impl18forallp_hip_kernelINS1_8hip_execINS_17iteration_mapping11StridedLoopILm0EEENS_3hip11IndexGlobalILNS_9named_dimE0ELi256ELi0EEENS8_40AvoidDeviceMaxThreadOccupancyConcretizerINS8_34FractionOffsetOccupancyConcretizerINS_8FractionImLm1ELm1EEELln1EEEEELb1EEENS_9Iterators16numeric_iteratorIllPlEEZN8rajaperf5basic13REDUCE_STRUCT26runHipVariantRAJANewReduceILm256ENSN_11gpu_mapping40global_loop_occupancy_grid_stride_helperEEEvNSN_9VariantIDEEUllRNS_4expt5ValOpIdNS_9operators4plusEEESZ_RNSV_IdNSW_7minimumEEES12_RNSV_IdNSW_7maximumEEES15_E_lNSU_15ForallParamPackIJNSU_6detail7ReducerINSX_IdddEEdSY_EES1B_NS19_INS10_IdddEEdS11_EES1D_NS19_INS13_IdddEEdS14_EES1F_EEES7_SB_TnNSt9enable_ifIXaaaasr3std10is_base_ofINS5_15StridedLoopBaseET4_EE5valuesr3std10is_base_ofINS5_15UnsizedLoopBaseES1J_EE5valuegtsrT5_10block_sizeLi0EEmE4typeELm256EEEvT1_T0_T2_T3_.num_vgpr, 28
	.set _ZN4RAJA6policy3hip4impl18forallp_hip_kernelINS1_8hip_execINS_17iteration_mapping11StridedLoopILm0EEENS_3hip11IndexGlobalILNS_9named_dimE0ELi256ELi0EEENS8_40AvoidDeviceMaxThreadOccupancyConcretizerINS8_34FractionOffsetOccupancyConcretizerINS_8FractionImLm1ELm1EEELln1EEEEELb1EEENS_9Iterators16numeric_iteratorIllPlEEZN8rajaperf5basic13REDUCE_STRUCT26runHipVariantRAJANewReduceILm256ENSN_11gpu_mapping40global_loop_occupancy_grid_stride_helperEEEvNSN_9VariantIDEEUllRNS_4expt5ValOpIdNS_9operators4plusEEESZ_RNSV_IdNSW_7minimumEEES12_RNSV_IdNSW_7maximumEEES15_E_lNSU_15ForallParamPackIJNSU_6detail7ReducerINSX_IdddEEdSY_EES1B_NS19_INS10_IdddEEdS11_EES1D_NS19_INS13_IdddEEdS14_EES1F_EEES7_SB_TnNSt9enable_ifIXaaaasr3std10is_base_ofINS5_15StridedLoopBaseET4_EE5valuesr3std10is_base_ofINS5_15UnsizedLoopBaseES1J_EE5valuegtsrT5_10block_sizeLi0EEmE4typeELm256EEEvT1_T0_T2_T3_.num_agpr, 0
	.set _ZN4RAJA6policy3hip4impl18forallp_hip_kernelINS1_8hip_execINS_17iteration_mapping11StridedLoopILm0EEENS_3hip11IndexGlobalILNS_9named_dimE0ELi256ELi0EEENS8_40AvoidDeviceMaxThreadOccupancyConcretizerINS8_34FractionOffsetOccupancyConcretizerINS_8FractionImLm1ELm1EEELln1EEEEELb1EEENS_9Iterators16numeric_iteratorIllPlEEZN8rajaperf5basic13REDUCE_STRUCT26runHipVariantRAJANewReduceILm256ENSN_11gpu_mapping40global_loop_occupancy_grid_stride_helperEEEvNSN_9VariantIDEEUllRNS_4expt5ValOpIdNS_9operators4plusEEESZ_RNSV_IdNSW_7minimumEEES12_RNSV_IdNSW_7maximumEEES15_E_lNSU_15ForallParamPackIJNSU_6detail7ReducerINSX_IdddEEdSY_EES1B_NS19_INS10_IdddEEdS11_EES1D_NS19_INS13_IdddEEdS14_EES1F_EEES7_SB_TnNSt9enable_ifIXaaaasr3std10is_base_ofINS5_15StridedLoopBaseET4_EE5valuesr3std10is_base_ofINS5_15UnsizedLoopBaseES1J_EE5valuegtsrT5_10block_sizeLi0EEmE4typeELm256EEEvT1_T0_T2_T3_.numbered_sgpr, 74
	.set _ZN4RAJA6policy3hip4impl18forallp_hip_kernelINS1_8hip_execINS_17iteration_mapping11StridedLoopILm0EEENS_3hip11IndexGlobalILNS_9named_dimE0ELi256ELi0EEENS8_40AvoidDeviceMaxThreadOccupancyConcretizerINS8_34FractionOffsetOccupancyConcretizerINS_8FractionImLm1ELm1EEELln1EEEEELb1EEENS_9Iterators16numeric_iteratorIllPlEEZN8rajaperf5basic13REDUCE_STRUCT26runHipVariantRAJANewReduceILm256ENSN_11gpu_mapping40global_loop_occupancy_grid_stride_helperEEEvNSN_9VariantIDEEUllRNS_4expt5ValOpIdNS_9operators4plusEEESZ_RNSV_IdNSW_7minimumEEES12_RNSV_IdNSW_7maximumEEES15_E_lNSU_15ForallParamPackIJNSU_6detail7ReducerINSX_IdddEEdSY_EES1B_NS19_INS10_IdddEEdS11_EES1D_NS19_INS13_IdddEEdS14_EES1F_EEES7_SB_TnNSt9enable_ifIXaaaasr3std10is_base_ofINS5_15StridedLoopBaseET4_EE5valuesr3std10is_base_ofINS5_15UnsizedLoopBaseES1J_EE5valuegtsrT5_10block_sizeLi0EEmE4typeELm256EEEvT1_T0_T2_T3_.num_named_barrier, 0
	.set _ZN4RAJA6policy3hip4impl18forallp_hip_kernelINS1_8hip_execINS_17iteration_mapping11StridedLoopILm0EEENS_3hip11IndexGlobalILNS_9named_dimE0ELi256ELi0EEENS8_40AvoidDeviceMaxThreadOccupancyConcretizerINS8_34FractionOffsetOccupancyConcretizerINS_8FractionImLm1ELm1EEELln1EEEEELb1EEENS_9Iterators16numeric_iteratorIllPlEEZN8rajaperf5basic13REDUCE_STRUCT26runHipVariantRAJANewReduceILm256ENSN_11gpu_mapping40global_loop_occupancy_grid_stride_helperEEEvNSN_9VariantIDEEUllRNS_4expt5ValOpIdNS_9operators4plusEEESZ_RNSV_IdNSW_7minimumEEES12_RNSV_IdNSW_7maximumEEES15_E_lNSU_15ForallParamPackIJNSU_6detail7ReducerINSX_IdddEEdSY_EES1B_NS19_INS10_IdddEEdS11_EES1D_NS19_INS13_IdddEEdS14_EES1F_EEES7_SB_TnNSt9enable_ifIXaaaasr3std10is_base_ofINS5_15StridedLoopBaseET4_EE5valuesr3std10is_base_ofINS5_15UnsizedLoopBaseES1J_EE5valuegtsrT5_10block_sizeLi0EEmE4typeELm256EEEvT1_T0_T2_T3_.private_seg_size, 0
	.set _ZN4RAJA6policy3hip4impl18forallp_hip_kernelINS1_8hip_execINS_17iteration_mapping11StridedLoopILm0EEENS_3hip11IndexGlobalILNS_9named_dimE0ELi256ELi0EEENS8_40AvoidDeviceMaxThreadOccupancyConcretizerINS8_34FractionOffsetOccupancyConcretizerINS_8FractionImLm1ELm1EEELln1EEEEELb1EEENS_9Iterators16numeric_iteratorIllPlEEZN8rajaperf5basic13REDUCE_STRUCT26runHipVariantRAJANewReduceILm256ENSN_11gpu_mapping40global_loop_occupancy_grid_stride_helperEEEvNSN_9VariantIDEEUllRNS_4expt5ValOpIdNS_9operators4plusEEESZ_RNSV_IdNSW_7minimumEEES12_RNSV_IdNSW_7maximumEEES15_E_lNSU_15ForallParamPackIJNSU_6detail7ReducerINSX_IdddEEdSY_EES1B_NS19_INS10_IdddEEdS11_EES1D_NS19_INS13_IdddEEdS14_EES1F_EEES7_SB_TnNSt9enable_ifIXaaaasr3std10is_base_ofINS5_15StridedLoopBaseET4_EE5valuesr3std10is_base_ofINS5_15UnsizedLoopBaseES1J_EE5valuegtsrT5_10block_sizeLi0EEmE4typeELm256EEEvT1_T0_T2_T3_.uses_vcc, 1
	.set _ZN4RAJA6policy3hip4impl18forallp_hip_kernelINS1_8hip_execINS_17iteration_mapping11StridedLoopILm0EEENS_3hip11IndexGlobalILNS_9named_dimE0ELi256ELi0EEENS8_40AvoidDeviceMaxThreadOccupancyConcretizerINS8_34FractionOffsetOccupancyConcretizerINS_8FractionImLm1ELm1EEELln1EEEEELb1EEENS_9Iterators16numeric_iteratorIllPlEEZN8rajaperf5basic13REDUCE_STRUCT26runHipVariantRAJANewReduceILm256ENSN_11gpu_mapping40global_loop_occupancy_grid_stride_helperEEEvNSN_9VariantIDEEUllRNS_4expt5ValOpIdNS_9operators4plusEEESZ_RNSV_IdNSW_7minimumEEES12_RNSV_IdNSW_7maximumEEES15_E_lNSU_15ForallParamPackIJNSU_6detail7ReducerINSX_IdddEEdSY_EES1B_NS19_INS10_IdddEEdS11_EES1D_NS19_INS13_IdddEEdS14_EES1F_EEES7_SB_TnNSt9enable_ifIXaaaasr3std10is_base_ofINS5_15StridedLoopBaseET4_EE5valuesr3std10is_base_ofINS5_15UnsizedLoopBaseES1J_EE5valuegtsrT5_10block_sizeLi0EEmE4typeELm256EEEvT1_T0_T2_T3_.uses_flat_scratch, 0
	.set _ZN4RAJA6policy3hip4impl18forallp_hip_kernelINS1_8hip_execINS_17iteration_mapping11StridedLoopILm0EEENS_3hip11IndexGlobalILNS_9named_dimE0ELi256ELi0EEENS8_40AvoidDeviceMaxThreadOccupancyConcretizerINS8_34FractionOffsetOccupancyConcretizerINS_8FractionImLm1ELm1EEELln1EEEEELb1EEENS_9Iterators16numeric_iteratorIllPlEEZN8rajaperf5basic13REDUCE_STRUCT26runHipVariantRAJANewReduceILm256ENSN_11gpu_mapping40global_loop_occupancy_grid_stride_helperEEEvNSN_9VariantIDEEUllRNS_4expt5ValOpIdNS_9operators4plusEEESZ_RNSV_IdNSW_7minimumEEES12_RNSV_IdNSW_7maximumEEES15_E_lNSU_15ForallParamPackIJNSU_6detail7ReducerINSX_IdddEEdSY_EES1B_NS19_INS10_IdddEEdS11_EES1D_NS19_INS13_IdddEEdS14_EES1F_EEES7_SB_TnNSt9enable_ifIXaaaasr3std10is_base_ofINS5_15StridedLoopBaseET4_EE5valuesr3std10is_base_ofINS5_15UnsizedLoopBaseES1J_EE5valuegtsrT5_10block_sizeLi0EEmE4typeELm256EEEvT1_T0_T2_T3_.has_dyn_sized_stack, 0
	.set _ZN4RAJA6policy3hip4impl18forallp_hip_kernelINS1_8hip_execINS_17iteration_mapping11StridedLoopILm0EEENS_3hip11IndexGlobalILNS_9named_dimE0ELi256ELi0EEENS8_40AvoidDeviceMaxThreadOccupancyConcretizerINS8_34FractionOffsetOccupancyConcretizerINS_8FractionImLm1ELm1EEELln1EEEEELb1EEENS_9Iterators16numeric_iteratorIllPlEEZN8rajaperf5basic13REDUCE_STRUCT26runHipVariantRAJANewReduceILm256ENSN_11gpu_mapping40global_loop_occupancy_grid_stride_helperEEEvNSN_9VariantIDEEUllRNS_4expt5ValOpIdNS_9operators4plusEEESZ_RNSV_IdNSW_7minimumEEES12_RNSV_IdNSW_7maximumEEES15_E_lNSU_15ForallParamPackIJNSU_6detail7ReducerINSX_IdddEEdSY_EES1B_NS19_INS10_IdddEEdS11_EES1D_NS19_INS13_IdddEEdS14_EES1F_EEES7_SB_TnNSt9enable_ifIXaaaasr3std10is_base_ofINS5_15StridedLoopBaseET4_EE5valuesr3std10is_base_ofINS5_15UnsizedLoopBaseES1J_EE5valuegtsrT5_10block_sizeLi0EEmE4typeELm256EEEvT1_T0_T2_T3_.has_recursion, 0
	.set _ZN4RAJA6policy3hip4impl18forallp_hip_kernelINS1_8hip_execINS_17iteration_mapping11StridedLoopILm0EEENS_3hip11IndexGlobalILNS_9named_dimE0ELi256ELi0EEENS8_40AvoidDeviceMaxThreadOccupancyConcretizerINS8_34FractionOffsetOccupancyConcretizerINS_8FractionImLm1ELm1EEELln1EEEEELb1EEENS_9Iterators16numeric_iteratorIllPlEEZN8rajaperf5basic13REDUCE_STRUCT26runHipVariantRAJANewReduceILm256ENSN_11gpu_mapping40global_loop_occupancy_grid_stride_helperEEEvNSN_9VariantIDEEUllRNS_4expt5ValOpIdNS_9operators4plusEEESZ_RNSV_IdNSW_7minimumEEES12_RNSV_IdNSW_7maximumEEES15_E_lNSU_15ForallParamPackIJNSU_6detail7ReducerINSX_IdddEEdSY_EES1B_NS19_INS10_IdddEEdS11_EES1D_NS19_INS13_IdddEEdS14_EES1F_EEES7_SB_TnNSt9enable_ifIXaaaasr3std10is_base_ofINS5_15StridedLoopBaseET4_EE5valuesr3std10is_base_ofINS5_15UnsizedLoopBaseES1J_EE5valuegtsrT5_10block_sizeLi0EEmE4typeELm256EEEvT1_T0_T2_T3_.has_indirect_call, 0
	.section	.AMDGPU.csdata,"",@progbits
; Kernel info:
; codeLenInByte = 8744
; TotalNumSgprs: 78
; NumVgprs: 28
; ScratchSize: 0
; MemoryBound: 0
; FloatMode: 240
; IeeeMode: 1
; LDSByteSize: 640 bytes/workgroup (compile time only)
; SGPRBlocks: 9
; VGPRBlocks: 6
; NumSGPRsForWavesPerEU: 78
; NumVGPRsForWavesPerEU: 28
; Occupancy: 9
; WaveLimiterHint : 0
; COMPUTE_PGM_RSRC2:SCRATCH_EN: 0
; COMPUTE_PGM_RSRC2:USER_SGPR: 6
; COMPUTE_PGM_RSRC2:TRAP_HANDLER: 0
; COMPUTE_PGM_RSRC2:TGID_X_EN: 1
; COMPUTE_PGM_RSRC2:TGID_Y_EN: 0
; COMPUTE_PGM_RSRC2:TGID_Z_EN: 0
; COMPUTE_PGM_RSRC2:TIDIG_COMP_CNT: 2
	.section	.AMDGPU.gpr_maximums,"",@progbits
	.set amdgpu.max_num_vgpr, 0
	.set amdgpu.max_num_agpr, 0
	.set amdgpu.max_num_sgpr, 0
	.section	.AMDGPU.csdata,"",@progbits
	.type	__hip_cuid_55d233d03764ab36,@object ; @__hip_cuid_55d233d03764ab36
	.section	.bss,"aw",@nobits
	.globl	__hip_cuid_55d233d03764ab36
__hip_cuid_55d233d03764ab36:
	.byte	0                               ; 0x0
	.size	__hip_cuid_55d233d03764ab36, 1

	.ident	"AMD clang version 22.0.0git (https://github.com/RadeonOpenCompute/llvm-project roc-7.2.4 26084 f58b06dce1f9c15707c5f808fd002e18c2accf7e)"
	.section	".note.GNU-stack","",@progbits
	.addrsig
	.addrsig_sym __hip_cuid_55d233d03764ab36
	.amdgpu_metadata
---
amdhsa.kernels:
  - .args:
      - .address_space:  global
        .offset:         0
        .size:           8
        .value_kind:     global_buffer
      - .address_space:  global
        .offset:         8
        .size:           8
        .value_kind:     global_buffer
      - .address_space:  global
        .offset:         16
        .size:           8
        .value_kind:     global_buffer
      - .address_space:  global
        .offset:         24
        .size:           8
        .value_kind:     global_buffer
      - .address_space:  global
        .offset:         32
        .size:           8
        .value_kind:     global_buffer
      - .address_space:  global
        .offset:         40
        .size:           8
        .value_kind:     global_buffer
      - .address_space:  global
        .offset:         48
        .size:           8
        .value_kind:     global_buffer
      - .address_space:  global
        .offset:         56
        .size:           8
        .value_kind:     global_buffer
      - .offset:         64
        .size:           8
        .value_kind:     by_value
      - .offset:         72
        .size:           8
        .value_kind:     by_value
      - .offset:         80
        .size:           8
        .value_kind:     by_value
      - .offset:         88
        .size:           8
        .value_kind:     by_value
      - .offset:         96
        .size:           4
        .value_kind:     hidden_block_count_x
      - .offset:         100
        .size:           4
        .value_kind:     hidden_block_count_y
      - .offset:         104
        .size:           4
        .value_kind:     hidden_block_count_z
      - .offset:         108
        .size:           2
        .value_kind:     hidden_group_size_x
      - .offset:         110
        .size:           2
        .value_kind:     hidden_group_size_y
      - .offset:         112
        .size:           2
        .value_kind:     hidden_group_size_z
      - .offset:         114
        .size:           2
        .value_kind:     hidden_remainder_x
      - .offset:         116
        .size:           2
        .value_kind:     hidden_remainder_y
      - .offset:         118
        .size:           2
        .value_kind:     hidden_remainder_z
      - .offset:         136
        .size:           8
        .value_kind:     hidden_global_offset_x
      - .offset:         144
        .size:           8
        .value_kind:     hidden_global_offset_y
      - .offset:         152
        .size:           8
        .value_kind:     hidden_global_offset_z
      - .offset:         160
        .size:           2
        .value_kind:     hidden_grid_dims
      - .offset:         216
        .size:           4
        .value_kind:     hidden_dynamic_lds_size
    .group_segment_fixed_size: 0
    .kernarg_segment_align: 8
    .kernarg_segment_size: 352
    .language:       OpenCL C
    .language_version:
      - 2
      - 0
    .max_flat_workgroup_size: 256
    .name:           _ZN8rajaperf5basic13reduce_structILm256EEEvPdS2_S2_S2_S2_S2_S2_S2_dddl
    .private_segment_fixed_size: 0
    .sgpr_count:     43
    .sgpr_spill_count: 0
    .symbol:         _ZN8rajaperf5basic13reduce_structILm256EEEvPdS2_S2_S2_S2_S2_S2_S2_dddl.kd
    .uniform_work_group_size: 1
    .uses_dynamic_stack: false
    .vgpr_count:     18
    .vgpr_spill_count: 0
    .wavefront_size: 64
  - .args:
      - .offset:         0
        .size:           256
        .value_kind:     by_value
      - .offset:         256
        .size:           8
        .value_kind:     by_value
      - .offset:         264
        .size:           8
        .value_kind:     by_value
      - .offset:         272
        .size:           1
        .value_kind:     by_value
      - .offset:         280
        .size:           4
        .value_kind:     hidden_block_count_x
      - .offset:         284
        .size:           4
        .value_kind:     hidden_block_count_y
      - .offset:         288
        .size:           4
        .value_kind:     hidden_block_count_z
      - .offset:         292
        .size:           2
        .value_kind:     hidden_group_size_x
      - .offset:         294
        .size:           2
        .value_kind:     hidden_group_size_y
      - .offset:         296
        .size:           2
        .value_kind:     hidden_group_size_z
      - .offset:         298
        .size:           2
        .value_kind:     hidden_remainder_x
      - .offset:         300
        .size:           2
        .value_kind:     hidden_remainder_y
      - .offset:         302
        .size:           2
        .value_kind:     hidden_remainder_z
      - .offset:         320
        .size:           8
        .value_kind:     hidden_global_offset_x
      - .offset:         328
        .size:           8
        .value_kind:     hidden_global_offset_y
      - .offset:         336
        .size:           8
        .value_kind:     hidden_global_offset_z
      - .offset:         344
        .size:           2
        .value_kind:     hidden_grid_dims
    .group_segment_fixed_size: 384
    .kernarg_segment_align: 8
    .kernarg_segment_size: 536
    .language:       OpenCL C
    .language_version:
      - 2
      - 0
    .max_flat_workgroup_size: 256
    .name:           _ZN4RAJA6policy3hip4impl18forallp_hip_kernelINS1_8hip_execINS_17iteration_mapping6DirectENS_3hip11IndexGlobalILNS_9named_dimE0ELi256ELi0EEENS7_40AvoidDeviceMaxThreadOccupancyConcretizerINS7_34FractionOffsetOccupancyConcretizerINS_8FractionImLm1ELm1EEELln1EEEEELb1EEENS_9Iterators16numeric_iteratorIllPlEEZN8rajaperf5basic13REDUCE_STRUCT17runHipVariantRAJAILm256ENSM_13gpu_algorithm19block_atomic_helperENSM_11gpu_mapping20global_direct_helperEEEvNSM_9VariantIDEEUllE_lNS_4expt15ForallParamPackIJEEES6_SA_TnNSt9enable_ifIXaasr3std10is_base_ofINS5_10DirectBaseET4_EE5valuegtsrT5_10block_sizeLi0EEmE4typeELm256EEEvT1_T0_T2_T3_
    .private_segment_fixed_size: 0
    .sgpr_count:     40
    .sgpr_spill_count: 0
    .symbol:         _ZN4RAJA6policy3hip4impl18forallp_hip_kernelINS1_8hip_execINS_17iteration_mapping6DirectENS_3hip11IndexGlobalILNS_9named_dimE0ELi256ELi0EEENS7_40AvoidDeviceMaxThreadOccupancyConcretizerINS7_34FractionOffsetOccupancyConcretizerINS_8FractionImLm1ELm1EEELln1EEEEELb1EEENS_9Iterators16numeric_iteratorIllPlEEZN8rajaperf5basic13REDUCE_STRUCT17runHipVariantRAJAILm256ENSM_13gpu_algorithm19block_atomic_helperENSM_11gpu_mapping20global_direct_helperEEEvNSM_9VariantIDEEUllE_lNS_4expt15ForallParamPackIJEEES6_SA_TnNSt9enable_ifIXaasr3std10is_base_ofINS5_10DirectBaseET4_EE5valuegtsrT5_10block_sizeLi0EEmE4typeELm256EEEvT1_T0_T2_T3_.kd
    .uniform_work_group_size: 1
    .uses_dynamic_stack: false
    .vgpr_count:     28
    .vgpr_spill_count: 0
    .wavefront_size: 64
  - .args:
      - .offset:         0
        .size:           352
        .value_kind:     by_value
      - .offset:         352
        .size:           8
        .value_kind:     by_value
      - .offset:         360
        .size:           8
        .value_kind:     by_value
      - .offset:         368
        .size:           1
        .value_kind:     by_value
      - .offset:         376
        .size:           4
        .value_kind:     hidden_block_count_x
      - .offset:         380
        .size:           4
        .value_kind:     hidden_block_count_y
      - .offset:         384
        .size:           4
        .value_kind:     hidden_block_count_z
      - .offset:         388
        .size:           2
        .value_kind:     hidden_group_size_x
      - .offset:         390
        .size:           2
        .value_kind:     hidden_group_size_y
      - .offset:         392
        .size:           2
        .value_kind:     hidden_group_size_z
      - .offset:         394
        .size:           2
        .value_kind:     hidden_remainder_x
      - .offset:         396
        .size:           2
        .value_kind:     hidden_remainder_y
      - .offset:         398
        .size:           2
        .value_kind:     hidden_remainder_z
      - .offset:         416
        .size:           8
        .value_kind:     hidden_global_offset_x
      - .offset:         424
        .size:           8
        .value_kind:     hidden_global_offset_y
      - .offset:         432
        .size:           8
        .value_kind:     hidden_global_offset_z
      - .offset:         440
        .size:           2
        .value_kind:     hidden_grid_dims
    .group_segment_fixed_size: 387
    .kernarg_segment_align: 8
    .kernarg_segment_size: 632
    .language:       OpenCL C
    .language_version:
      - 2
      - 0
    .max_flat_workgroup_size: 256
    .name:           _ZN4RAJA6policy3hip4impl18forallp_hip_kernelINS1_8hip_execINS_17iteration_mapping6DirectENS_3hip11IndexGlobalILNS_9named_dimE0ELi256ELi0EEENS7_40AvoidDeviceMaxThreadOccupancyConcretizerINS7_34FractionOffsetOccupancyConcretizerINS_8FractionImLm1ELm1EEELln1EEEEELb1EEENS_9Iterators16numeric_iteratorIllPlEEZN8rajaperf5basic13REDUCE_STRUCT17runHipVariantRAJAILm256ENSM_13gpu_algorithm19block_device_helperENSM_11gpu_mapping20global_direct_helperEEEvNSM_9VariantIDEEUllE_lNS_4expt15ForallParamPackIJEEES6_SA_TnNSt9enable_ifIXaasr3std10is_base_ofINS5_10DirectBaseET4_EE5valuegtsrT5_10block_sizeLi0EEmE4typeELm256EEEvT1_T0_T2_T3_
    .private_segment_fixed_size: 0
    .sgpr_count:     62
    .sgpr_spill_count: 0
    .symbol:         _ZN4RAJA6policy3hip4impl18forallp_hip_kernelINS1_8hip_execINS_17iteration_mapping6DirectENS_3hip11IndexGlobalILNS_9named_dimE0ELi256ELi0EEENS7_40AvoidDeviceMaxThreadOccupancyConcretizerINS7_34FractionOffsetOccupancyConcretizerINS_8FractionImLm1ELm1EEELln1EEEEELb1EEENS_9Iterators16numeric_iteratorIllPlEEZN8rajaperf5basic13REDUCE_STRUCT17runHipVariantRAJAILm256ENSM_13gpu_algorithm19block_device_helperENSM_11gpu_mapping20global_direct_helperEEEvNSM_9VariantIDEEUllE_lNS_4expt15ForallParamPackIJEEES6_SA_TnNSt9enable_ifIXaasr3std10is_base_ofINS5_10DirectBaseET4_EE5valuegtsrT5_10block_sizeLi0EEmE4typeELm256EEEvT1_T0_T2_T3_.kd
    .uniform_work_group_size: 1
    .uses_dynamic_stack: false
    .vgpr_count:     33
    .vgpr_spill_count: 0
    .wavefront_size: 64
  - .args:
      - .offset:         0
        .size:           16
        .value_kind:     by_value
      - .offset:         16
        .size:           8
        .value_kind:     by_value
      - .offset:         24
        .size:           8
        .value_kind:     by_value
      - .offset:         32
        .size:           240
        .value_kind:     by_value
      - .offset:         272
        .size:           4
        .value_kind:     hidden_block_count_x
      - .offset:         276
        .size:           4
        .value_kind:     hidden_block_count_y
      - .offset:         280
        .size:           4
        .value_kind:     hidden_block_count_z
      - .offset:         284
        .size:           2
        .value_kind:     hidden_group_size_x
      - .offset:         286
        .size:           2
        .value_kind:     hidden_group_size_y
      - .offset:         288
        .size:           2
        .value_kind:     hidden_group_size_z
      - .offset:         290
        .size:           2
        .value_kind:     hidden_remainder_x
      - .offset:         292
        .size:           2
        .value_kind:     hidden_remainder_y
      - .offset:         294
        .size:           2
        .value_kind:     hidden_remainder_z
      - .offset:         312
        .size:           8
        .value_kind:     hidden_global_offset_x
      - .offset:         320
        .size:           8
        .value_kind:     hidden_global_offset_y
      - .offset:         328
        .size:           8
        .value_kind:     hidden_global_offset_z
      - .offset:         336
        .size:           2
        .value_kind:     hidden_grid_dims
    .group_segment_fixed_size: 640
    .kernarg_segment_align: 8
    .kernarg_segment_size: 528
    .language:       OpenCL C
    .language_version:
      - 2
      - 0
    .max_flat_workgroup_size: 256
    .name:           _ZN4RAJA6policy3hip4impl18forallp_hip_kernelINS1_8hip_execINS_17iteration_mapping6DirectENS_3hip11IndexGlobalILNS_9named_dimE0ELi256ELi0EEENS7_40AvoidDeviceMaxThreadOccupancyConcretizerINS7_34FractionOffsetOccupancyConcretizerINS_8FractionImLm1ELm1EEELln1EEEEELb1EEENS_9Iterators16numeric_iteratorIllPlEEZN8rajaperf5basic13REDUCE_STRUCT26runHipVariantRAJANewReduceILm256ENSM_11gpu_mapping20global_direct_helperEEEvNSM_9VariantIDEEUllRNS_4expt5ValOpIdNS_9operators4plusEEESY_RNSU_IdNSV_7minimumEEES11_RNSU_IdNSV_7maximumEEES14_E_lNST_15ForallParamPackIJNST_6detail7ReducerINSW_IdddEEdSX_EES1A_NS18_INSZ_IdddEEdS10_EES1C_NS18_INS12_IdddEEdS13_EES1E_EEES6_SA_TnNSt9enable_ifIXaasr3std10is_base_ofINS5_10DirectBaseET4_EE5valuegtsrT5_10block_sizeLi0EEmE4typeELm256EEEvT1_T0_T2_T3_
    .private_segment_fixed_size: 0
    .sgpr_count:     64
    .sgpr_spill_count: 0
    .symbol:         _ZN4RAJA6policy3hip4impl18forallp_hip_kernelINS1_8hip_execINS_17iteration_mapping6DirectENS_3hip11IndexGlobalILNS_9named_dimE0ELi256ELi0EEENS7_40AvoidDeviceMaxThreadOccupancyConcretizerINS7_34FractionOffsetOccupancyConcretizerINS_8FractionImLm1ELm1EEELln1EEEEELb1EEENS_9Iterators16numeric_iteratorIllPlEEZN8rajaperf5basic13REDUCE_STRUCT26runHipVariantRAJANewReduceILm256ENSM_11gpu_mapping20global_direct_helperEEEvNSM_9VariantIDEEUllRNS_4expt5ValOpIdNS_9operators4plusEEESY_RNSU_IdNSV_7minimumEEES11_RNSU_IdNSV_7maximumEEES14_E_lNST_15ForallParamPackIJNST_6detail7ReducerINSW_IdddEEdSX_EES1A_NS18_INSZ_IdddEEdS10_EES1C_NS18_INS12_IdddEEdS13_EES1E_EEES6_SA_TnNSt9enable_ifIXaasr3std10is_base_ofINS5_10DirectBaseET4_EE5valuegtsrT5_10block_sizeLi0EEmE4typeELm256EEEvT1_T0_T2_T3_.kd
    .uniform_work_group_size: 1
    .uses_dynamic_stack: false
    .vgpr_count:     28
    .vgpr_spill_count: 0
    .wavefront_size: 64
  - .args:
      - .offset:         0
        .size:           256
        .value_kind:     by_value
      - .offset:         256
        .size:           8
        .value_kind:     by_value
      - .offset:         264
        .size:           8
        .value_kind:     by_value
      - .offset:         272
        .size:           1
        .value_kind:     by_value
      - .offset:         280
        .size:           4
        .value_kind:     hidden_block_count_x
      - .offset:         284
        .size:           4
        .value_kind:     hidden_block_count_y
      - .offset:         288
        .size:           4
        .value_kind:     hidden_block_count_z
      - .offset:         292
        .size:           2
        .value_kind:     hidden_group_size_x
      - .offset:         294
        .size:           2
        .value_kind:     hidden_group_size_y
      - .offset:         296
        .size:           2
        .value_kind:     hidden_group_size_z
      - .offset:         298
        .size:           2
        .value_kind:     hidden_remainder_x
      - .offset:         300
        .size:           2
        .value_kind:     hidden_remainder_y
      - .offset:         302
        .size:           2
        .value_kind:     hidden_remainder_z
      - .offset:         320
        .size:           8
        .value_kind:     hidden_global_offset_x
      - .offset:         328
        .size:           8
        .value_kind:     hidden_global_offset_y
      - .offset:         336
        .size:           8
        .value_kind:     hidden_global_offset_z
      - .offset:         344
        .size:           2
        .value_kind:     hidden_grid_dims
    .group_segment_fixed_size: 384
    .kernarg_segment_align: 8
    .kernarg_segment_size: 536
    .language:       OpenCL C
    .language_version:
      - 2
      - 0
    .max_flat_workgroup_size: 256
    .name:           _ZN4RAJA6policy3hip4impl18forallp_hip_kernelINS1_8hip_execINS_17iteration_mapping11StridedLoopILm0EEENS_3hip11IndexGlobalILNS_9named_dimE0ELi256ELi0EEENS8_40AvoidDeviceMaxThreadOccupancyConcretizerINS8_34FractionOffsetOccupancyConcretizerINS_8FractionImLm1ELm1EEELln1EEEEELb1EEENS_9Iterators16numeric_iteratorIllPlEEZN8rajaperf5basic13REDUCE_STRUCT17runHipVariantRAJAILm256ENSN_13gpu_algorithm19block_atomic_helperENSN_11gpu_mapping40global_loop_occupancy_grid_stride_helperEEEvNSN_9VariantIDEEUllE_lNS_4expt15ForallParamPackIJEEES7_SB_TnNSt9enable_ifIXaaaasr3std10is_base_ofINS5_15StridedLoopBaseET4_EE5valuesr3std10is_base_ofINS5_15UnsizedLoopBaseES12_EE5valuegtsrT5_10block_sizeLi0EEmE4typeELm256EEEvT1_T0_T2_T3_
    .private_segment_fixed_size: 0
    .sgpr_count:     58
    .sgpr_spill_count: 0
    .symbol:         _ZN4RAJA6policy3hip4impl18forallp_hip_kernelINS1_8hip_execINS_17iteration_mapping11StridedLoopILm0EEENS_3hip11IndexGlobalILNS_9named_dimE0ELi256ELi0EEENS8_40AvoidDeviceMaxThreadOccupancyConcretizerINS8_34FractionOffsetOccupancyConcretizerINS_8FractionImLm1ELm1EEELln1EEEEELb1EEENS_9Iterators16numeric_iteratorIllPlEEZN8rajaperf5basic13REDUCE_STRUCT17runHipVariantRAJAILm256ENSN_13gpu_algorithm19block_atomic_helperENSN_11gpu_mapping40global_loop_occupancy_grid_stride_helperEEEvNSN_9VariantIDEEUllE_lNS_4expt15ForallParamPackIJEEES7_SB_TnNSt9enable_ifIXaaaasr3std10is_base_ofINS5_15StridedLoopBaseET4_EE5valuesr3std10is_base_ofINS5_15UnsizedLoopBaseES12_EE5valuegtsrT5_10block_sizeLi0EEmE4typeELm256EEEvT1_T0_T2_T3_.kd
    .uniform_work_group_size: 1
    .uses_dynamic_stack: false
    .vgpr_count:     28
    .vgpr_spill_count: 0
    .wavefront_size: 64
  - .args:
      - .offset:         0
        .size:           352
        .value_kind:     by_value
      - .offset:         352
        .size:           8
        .value_kind:     by_value
      - .offset:         360
        .size:           8
        .value_kind:     by_value
      - .offset:         368
        .size:           1
        .value_kind:     by_value
      - .offset:         376
        .size:           4
        .value_kind:     hidden_block_count_x
      - .offset:         380
        .size:           4
        .value_kind:     hidden_block_count_y
      - .offset:         384
        .size:           4
        .value_kind:     hidden_block_count_z
      - .offset:         388
        .size:           2
        .value_kind:     hidden_group_size_x
      - .offset:         390
        .size:           2
        .value_kind:     hidden_group_size_y
      - .offset:         392
        .size:           2
        .value_kind:     hidden_group_size_z
      - .offset:         394
        .size:           2
        .value_kind:     hidden_remainder_x
      - .offset:         396
        .size:           2
        .value_kind:     hidden_remainder_y
      - .offset:         398
        .size:           2
        .value_kind:     hidden_remainder_z
      - .offset:         416
        .size:           8
        .value_kind:     hidden_global_offset_x
      - .offset:         424
        .size:           8
        .value_kind:     hidden_global_offset_y
      - .offset:         432
        .size:           8
        .value_kind:     hidden_global_offset_z
      - .offset:         440
        .size:           2
        .value_kind:     hidden_grid_dims
    .group_segment_fixed_size: 387
    .kernarg_segment_align: 8
    .kernarg_segment_size: 632
    .language:       OpenCL C
    .language_version:
      - 2
      - 0
    .max_flat_workgroup_size: 256
    .name:           _ZN4RAJA6policy3hip4impl18forallp_hip_kernelINS1_8hip_execINS_17iteration_mapping11StridedLoopILm0EEENS_3hip11IndexGlobalILNS_9named_dimE0ELi256ELi0EEENS8_40AvoidDeviceMaxThreadOccupancyConcretizerINS8_34FractionOffsetOccupancyConcretizerINS_8FractionImLm1ELm1EEELln1EEEEELb1EEENS_9Iterators16numeric_iteratorIllPlEEZN8rajaperf5basic13REDUCE_STRUCT17runHipVariantRAJAILm256ENSN_13gpu_algorithm19block_device_helperENSN_11gpu_mapping40global_loop_occupancy_grid_stride_helperEEEvNSN_9VariantIDEEUllE_lNS_4expt15ForallParamPackIJEEES7_SB_TnNSt9enable_ifIXaaaasr3std10is_base_ofINS5_15StridedLoopBaseET4_EE5valuesr3std10is_base_ofINS5_15UnsizedLoopBaseES12_EE5valuegtsrT5_10block_sizeLi0EEmE4typeELm256EEEvT1_T0_T2_T3_
    .private_segment_fixed_size: 0
    .sgpr_count:     88
    .sgpr_spill_count: 0
    .symbol:         _ZN4RAJA6policy3hip4impl18forallp_hip_kernelINS1_8hip_execINS_17iteration_mapping11StridedLoopILm0EEENS_3hip11IndexGlobalILNS_9named_dimE0ELi256ELi0EEENS8_40AvoidDeviceMaxThreadOccupancyConcretizerINS8_34FractionOffsetOccupancyConcretizerINS_8FractionImLm1ELm1EEELln1EEEEELb1EEENS_9Iterators16numeric_iteratorIllPlEEZN8rajaperf5basic13REDUCE_STRUCT17runHipVariantRAJAILm256ENSN_13gpu_algorithm19block_device_helperENSN_11gpu_mapping40global_loop_occupancy_grid_stride_helperEEEvNSN_9VariantIDEEUllE_lNS_4expt15ForallParamPackIJEEES7_SB_TnNSt9enable_ifIXaaaasr3std10is_base_ofINS5_15StridedLoopBaseET4_EE5valuesr3std10is_base_ofINS5_15UnsizedLoopBaseES12_EE5valuegtsrT5_10block_sizeLi0EEmE4typeELm256EEEvT1_T0_T2_T3_.kd
    .uniform_work_group_size: 1
    .uses_dynamic_stack: false
    .vgpr_count:     33
    .vgpr_spill_count: 0
    .wavefront_size: 64
  - .args:
      - .offset:         0
        .size:           16
        .value_kind:     by_value
      - .offset:         16
        .size:           8
        .value_kind:     by_value
      - .offset:         24
        .size:           8
        .value_kind:     by_value
      - .offset:         32
        .size:           240
        .value_kind:     by_value
      - .offset:         272
        .size:           4
        .value_kind:     hidden_block_count_x
      - .offset:         276
        .size:           4
        .value_kind:     hidden_block_count_y
      - .offset:         280
        .size:           4
        .value_kind:     hidden_block_count_z
      - .offset:         284
        .size:           2
        .value_kind:     hidden_group_size_x
      - .offset:         286
        .size:           2
        .value_kind:     hidden_group_size_y
      - .offset:         288
        .size:           2
        .value_kind:     hidden_group_size_z
      - .offset:         290
        .size:           2
        .value_kind:     hidden_remainder_x
      - .offset:         292
        .size:           2
        .value_kind:     hidden_remainder_y
      - .offset:         294
        .size:           2
        .value_kind:     hidden_remainder_z
      - .offset:         312
        .size:           8
        .value_kind:     hidden_global_offset_x
      - .offset:         320
        .size:           8
        .value_kind:     hidden_global_offset_y
      - .offset:         328
        .size:           8
        .value_kind:     hidden_global_offset_z
      - .offset:         336
        .size:           2
        .value_kind:     hidden_grid_dims
    .group_segment_fixed_size: 640
    .kernarg_segment_align: 8
    .kernarg_segment_size: 528
    .language:       OpenCL C
    .language_version:
      - 2
      - 0
    .max_flat_workgroup_size: 256
    .name:           _ZN4RAJA6policy3hip4impl18forallp_hip_kernelINS1_8hip_execINS_17iteration_mapping11StridedLoopILm0EEENS_3hip11IndexGlobalILNS_9named_dimE0ELi256ELi0EEENS8_40AvoidDeviceMaxThreadOccupancyConcretizerINS8_34FractionOffsetOccupancyConcretizerINS_8FractionImLm1ELm1EEELln1EEEEELb1EEENS_9Iterators16numeric_iteratorIllPlEEZN8rajaperf5basic13REDUCE_STRUCT26runHipVariantRAJANewReduceILm256ENSN_11gpu_mapping40global_loop_occupancy_grid_stride_helperEEEvNSN_9VariantIDEEUllRNS_4expt5ValOpIdNS_9operators4plusEEESZ_RNSV_IdNSW_7minimumEEES12_RNSV_IdNSW_7maximumEEES15_E_lNSU_15ForallParamPackIJNSU_6detail7ReducerINSX_IdddEEdSY_EES1B_NS19_INS10_IdddEEdS11_EES1D_NS19_INS13_IdddEEdS14_EES1F_EEES7_SB_TnNSt9enable_ifIXaaaasr3std10is_base_ofINS5_15StridedLoopBaseET4_EE5valuesr3std10is_base_ofINS5_15UnsizedLoopBaseES1J_EE5valuegtsrT5_10block_sizeLi0EEmE4typeELm256EEEvT1_T0_T2_T3_
    .private_segment_fixed_size: 0
    .sgpr_count:     78
    .sgpr_spill_count: 0
    .symbol:         _ZN4RAJA6policy3hip4impl18forallp_hip_kernelINS1_8hip_execINS_17iteration_mapping11StridedLoopILm0EEENS_3hip11IndexGlobalILNS_9named_dimE0ELi256ELi0EEENS8_40AvoidDeviceMaxThreadOccupancyConcretizerINS8_34FractionOffsetOccupancyConcretizerINS_8FractionImLm1ELm1EEELln1EEEEELb1EEENS_9Iterators16numeric_iteratorIllPlEEZN8rajaperf5basic13REDUCE_STRUCT26runHipVariantRAJANewReduceILm256ENSN_11gpu_mapping40global_loop_occupancy_grid_stride_helperEEEvNSN_9VariantIDEEUllRNS_4expt5ValOpIdNS_9operators4plusEEESZ_RNSV_IdNSW_7minimumEEES12_RNSV_IdNSW_7maximumEEES15_E_lNSU_15ForallParamPackIJNSU_6detail7ReducerINSX_IdddEEdSY_EES1B_NS19_INS10_IdddEEdS11_EES1D_NS19_INS13_IdddEEdS14_EES1F_EEES7_SB_TnNSt9enable_ifIXaaaasr3std10is_base_ofINS5_15StridedLoopBaseET4_EE5valuesr3std10is_base_ofINS5_15UnsizedLoopBaseES1J_EE5valuegtsrT5_10block_sizeLi0EEmE4typeELm256EEEvT1_T0_T2_T3_.kd
    .uniform_work_group_size: 1
    .uses_dynamic_stack: false
    .vgpr_count:     28
    .vgpr_spill_count: 0
    .wavefront_size: 64
amdhsa.target:   amdgcn-amd-amdhsa--gfx906
amdhsa.version:
  - 1
  - 2
...

	.end_amdgpu_metadata
